;; amdgpu-corpus repo=ROCm/rocFFT kind=compiled arch=gfx906 opt=O3
	.text
	.amdgcn_target "amdgcn-amd-amdhsa--gfx906"
	.amdhsa_code_object_version 6
	.protected	fft_rtc_back_len289_factors_17_17_wgs_119_tpt_17_sp_op_CI_CI_sbrc_unaligned ; -- Begin function fft_rtc_back_len289_factors_17_17_wgs_119_tpt_17_sp_op_CI_CI_sbrc_unaligned
	.globl	fft_rtc_back_len289_factors_17_17_wgs_119_tpt_17_sp_op_CI_CI_sbrc_unaligned
	.p2align	8
	.type	fft_rtc_back_len289_factors_17_17_wgs_119_tpt_17_sp_op_CI_CI_sbrc_unaligned,@function
fft_rtc_back_len289_factors_17_17_wgs_119_tpt_17_sp_op_CI_CI_sbrc_unaligned: ; @fft_rtc_back_len289_factors_17_17_wgs_119_tpt_17_sp_op_CI_CI_sbrc_unaligned
; %bb.0:
	s_load_dwordx8 s[8:15], s[4:5], 0x0
	s_mov_b32 s30, 0
	s_mov_b64 s[34:35], 2
	s_mov_b32 s40, s30
	s_waitcnt lgkmcnt(0)
	s_load_dword s33, s[12:13], 0x8
	s_load_dwordx4 s[20:23], s[4:5], 0x58
	s_load_dwordx2 s[28:29], s[4:5], 0x20
	s_load_dwordx4 s[24:27], s[14:15], 0x0
	s_waitcnt lgkmcnt(0)
	s_add_i32 s0, s33, -1
	s_mul_hi_u32 s1, s0, 0x24924925
	s_sub_i32 s0, s0, s1
	s_lshr_b32 s0, s0, 1
	s_add_i32 s0, s0, s1
	s_lshr_b32 s0, s0, 2
	s_add_i32 s7, s0, 1
	v_cvt_f32_u32_e32 v1, s7
	s_sub_i32 s2, 0, s7
	s_load_dwordx4 s[16:19], s[28:29], 0x0
	v_cmp_gt_u64_e64 s[0:1], s[10:11], 2
	v_rcp_iflag_f32_e32 v1, v1
	v_mul_f32_e32 v1, 0x4f7ffffe, v1
	v_cvt_u32_f32_e32 v1, v1
	v_readfirstlane_b32 s3, v1
	s_mul_i32 s2, s2, s3
	s_mul_hi_u32 s2, s3, s2
	s_add_i32 s3, s3, s2
	s_mul_hi_u32 s2, s6, s3
	s_mul_i32 s3, s2, s7
	s_sub_i32 s3, s6, s3
	s_add_i32 s4, s2, 1
	s_sub_i32 s5, s3, s7
	s_cmp_ge_u32 s3, s7
	s_cselect_b32 s2, s4, s2
	s_cselect_b32 s3, s5, s3
	s_add_i32 s4, s2, 1
	s_cmp_ge_u32 s3, s7
	s_cselect_b32 s27, s4, s2
	s_and_b64 vcc, exec, s[0:1]
	s_mul_i32 s0, s27, s7
	s_waitcnt lgkmcnt(0)
	s_sub_i32 s19, s6, s0
	s_mul_i32 s19, s19, 7
	s_mul_i32 s0, s17, s19
	s_mul_hi_u32 s1, s16, s19
	s_mul_i32 s41, s19, s26
	s_mul_i32 s2, s16, s19
	s_add_i32 s3, s1, s0
	s_cbranch_vccz .LBB0_9
; %bb.1:
	v_mov_b32_e32 v1, s10
	s_mov_b32 s4, 3
	v_mov_b32_e32 v2, s11
.LBB0_2:                                ; =>This Inner Loop Header: Depth=1
	s_lshl_b64 s[34:35], s[34:35], 3
	s_add_u32 s0, s12, s34
	s_addc_u32 s1, s13, s35
	s_load_dwordx2 s[36:37], s[0:1], 0x0
	s_waitcnt lgkmcnt(0)
	s_mov_b32 s31, s37
	s_cmp_lg_u64 s[30:31], 0
	s_cbranch_scc0 .LBB0_7
; %bb.3:                                ;   in Loop: Header=BB0_2 Depth=1
	v_cvt_f32_u32_e32 v3, s36
	v_cvt_f32_u32_e32 v4, s37
	s_sub_u32 s0, 0, s36
	s_subb_u32 s1, 0, s37
	v_mac_f32_e32 v3, 0x4f800000, v4
	v_rcp_f32_e32 v3, v3
	v_mul_f32_e32 v3, 0x5f7ffffc, v3
	v_mul_f32_e32 v4, 0x2f800000, v3
	v_trunc_f32_e32 v4, v4
	v_mac_f32_e32 v3, 0xcf800000, v4
	v_cvt_u32_f32_e32 v4, v4
	v_cvt_u32_f32_e32 v3, v3
	v_readfirstlane_b32 s5, v4
	v_readfirstlane_b32 s31, v3
	s_mul_i32 s38, s0, s5
	s_mul_hi_u32 s42, s0, s31
	s_mul_i32 s39, s1, s31
	s_add_i32 s38, s42, s38
	s_mul_i32 s43, s0, s31
	s_add_i32 s38, s38, s39
	s_mul_hi_u32 s39, s31, s38
	s_mul_i32 s42, s31, s38
	s_mul_hi_u32 s31, s31, s43
	s_add_u32 s31, s31, s42
	s_addc_u32 s39, 0, s39
	s_mul_hi_u32 s44, s5, s43
	s_mul_i32 s43, s5, s43
	s_add_u32 s31, s31, s43
	s_mul_hi_u32 s42, s5, s38
	s_addc_u32 s31, s39, s44
	s_addc_u32 s39, s42, 0
	s_mul_i32 s38, s5, s38
	s_add_u32 s31, s31, s38
	s_addc_u32 s38, 0, s39
	v_add_co_u32_e32 v3, vcc, s31, v3
	s_cmp_lg_u64 vcc, 0
	s_addc_u32 s5, s5, s38
	v_readfirstlane_b32 s38, v3
	s_mul_i32 s31, s0, s5
	s_mul_hi_u32 s39, s0, s38
	s_add_i32 s31, s39, s31
	s_mul_i32 s1, s1, s38
	s_add_i32 s31, s31, s1
	s_mul_i32 s0, s0, s38
	s_mul_hi_u32 s39, s5, s0
	s_mul_i32 s42, s5, s0
	s_mul_i32 s44, s38, s31
	s_mul_hi_u32 s0, s38, s0
	s_mul_hi_u32 s43, s38, s31
	s_add_u32 s0, s0, s44
	s_addc_u32 s38, 0, s43
	s_add_u32 s0, s0, s42
	s_mul_hi_u32 s1, s5, s31
	s_addc_u32 s0, s38, s39
	s_addc_u32 s1, s1, 0
	s_mul_i32 s31, s5, s31
	s_add_u32 s0, s0, s31
	s_addc_u32 s1, 0, s1
	v_add_co_u32_e32 v3, vcc, s0, v3
	s_cmp_lg_u64 vcc, 0
	s_addc_u32 s0, s5, s1
	v_readfirstlane_b32 s5, v3
	s_mul_hi_u32 s1, s27, s0
	s_mul_i32 s0, s27, s0
	s_mul_hi_u32 s5, s27, s5
	s_add_u32 s0, s5, s0
	s_addc_u32 s5, 0, s1
	s_mul_i32 s0, s37, s5
	s_mul_hi_u32 s1, s36, s5
	s_add_i32 s31, s1, s0
	s_mul_i32 s1, s36, s5
	v_mov_b32_e32 v3, s1
	s_sub_i32 s0, 0, s31
	v_sub_co_u32_e32 v3, vcc, s27, v3
	s_cmp_lg_u64 vcc, 0
	s_subb_u32 s38, s0, s37
	v_subrev_co_u32_e64 v4, s[0:1], s36, v3
	s_cmp_lg_u64 s[0:1], 0
	s_subb_u32 s0, s38, 0
	s_cmp_ge_u32 s0, s37
	v_readfirstlane_b32 s38, v4
	s_cselect_b32 s1, -1, 0
	s_cmp_ge_u32 s38, s36
	s_cselect_b32 s38, -1, 0
	s_cmp_eq_u32 s0, s37
	s_cselect_b32 s0, s38, s1
	s_add_u32 s1, s5, 1
	s_addc_u32 s38, 0, 0
	s_add_u32 s39, s5, 2
	s_addc_u32 s42, 0, 0
	s_cmp_lg_u32 s0, 0
	s_cselect_b32 s0, s39, s1
	s_cselect_b32 s1, s42, s38
	s_cmp_lg_u64 vcc, 0
	s_subb_u32 s31, 0, s31
	s_cmp_ge_u32 s31, s37
	v_readfirstlane_b32 s39, v3
	s_cselect_b32 s38, -1, 0
	s_cmp_ge_u32 s39, s36
	s_cselect_b32 s39, -1, 0
	s_cmp_eq_u32 s31, s37
	s_cselect_b32 s31, s39, s38
	s_cmp_lg_u32 s31, 0
	s_cselect_b32 s1, s1, 0
	s_cselect_b32 s0, s0, s5
	s_cbranch_execnz .LBB0_5
.LBB0_4:                                ;   in Loop: Header=BB0_2 Depth=1
	v_cvt_f32_u32_e32 v3, s36
	s_sub_i32 s0, 0, s36
	v_rcp_iflag_f32_e32 v3, v3
	v_mul_f32_e32 v3, 0x4f7ffffe, v3
	v_cvt_u32_f32_e32 v3, v3
	v_readfirstlane_b32 s1, v3
	s_mul_i32 s0, s0, s1
	s_mul_hi_u32 s0, s1, s0
	s_add_i32 s1, s1, s0
	s_mul_hi_u32 s0, s27, s1
	s_mul_i32 s5, s0, s36
	s_sub_i32 s5, s27, s5
	s_add_i32 s1, s0, 1
	s_sub_i32 s31, s5, s36
	s_cmp_ge_u32 s5, s36
	s_cselect_b32 s0, s1, s0
	s_cselect_b32 s5, s31, s5
	s_add_i32 s1, s0, 1
	s_cmp_ge_u32 s5, s36
	s_cselect_b32 s0, s1, s0
	s_mov_b32 s1, s30
.LBB0_5:                                ;   in Loop: Header=BB0_2 Depth=1
	s_mul_i32 s5, s0, s37
	s_mul_hi_u32 s31, s0, s36
	s_add_i32 s5, s31, s5
	s_mul_i32 s1, s1, s36
	s_add_i32 s5, s5, s1
	s_mul_i32 s1, s0, s36
	s_sub_u32 s1, s27, s1
	s_subb_u32 s5, 0, s5
	s_add_u32 s38, s14, s34
	s_addc_u32 s39, s15, s35
	s_load_dwordx2 s[38:39], s[38:39], 0x0
	s_mul_i32 s7, s7, s36
	s_waitcnt lgkmcnt(0)
	s_mul_i32 s27, s38, s5
	s_mul_hi_u32 s31, s38, s1
	s_add_i32 s27, s31, s27
	s_mul_i32 s31, s39, s1
	s_add_i32 s27, s27, s31
	s_mul_i32 s31, s38, s1
	s_add_u32 s41, s31, s41
	s_addc_u32 s40, s27, s40
	s_add_u32 s34, s28, s34
	s_addc_u32 s35, s29, s35
	s_load_dwordx2 s[34:35], s[34:35], 0x0
	s_waitcnt lgkmcnt(0)
	s_mul_i32 s5, s34, s5
	s_mul_hi_u32 s27, s34, s1
	s_add_i32 s5, s27, s5
	s_mul_i32 s27, s35, s1
	s_add_i32 s5, s5, s27
	s_mul_i32 s1, s34, s1
	s_add_u32 s2, s1, s2
	s_addc_u32 s3, s5, s3
	s_mov_b32 s5, s30
	v_cmp_ge_u64_e32 vcc, s[4:5], v[1:2]
	s_mov_b64 s[34:35], s[4:5]
	s_add_i32 s4, s4, 1
	s_cbranch_vccnz .LBB0_8
; %bb.6:                                ;   in Loop: Header=BB0_2 Depth=1
	s_mov_b32 s27, s0
	s_branch .LBB0_2
.LBB0_7:                                ;   in Loop: Header=BB0_2 Depth=1
                                        ; implicit-def: $sgpr0_sgpr1
	s_branch .LBB0_4
.LBB0_8:
	v_cvt_f32_u32_e32 v1, s7
	s_sub_i32 s0, 0, s7
	v_rcp_iflag_f32_e32 v1, v1
	v_mul_f32_e32 v1, 0x4f7ffffe, v1
	v_cvt_u32_f32_e32 v1, v1
	v_readfirstlane_b32 s1, v1
	s_mul_i32 s0, s0, s1
	s_mul_hi_u32 s0, s1, s0
	s_add_i32 s1, s1, s0
	s_mul_hi_u32 s0, s6, s1
	s_mul_i32 s1, s0, s7
	s_sub_i32 s1, s6, s1
	s_add_i32 s4, s0, 1
	s_sub_i32 s5, s1, s7
	s_cmp_ge_u32 s1, s7
	s_cselect_b32 s0, s4, s0
	s_cselect_b32 s1, s5, s1
	s_add_i32 s4, s0, 1
	s_cmp_ge_u32 s1, s7
	s_cselect_b32 s27, s4, s0
.LBB0_9:
	s_lshl_b64 s[0:1], s[10:11], 3
	s_add_u32 s4, s14, s0
	s_addc_u32 s5, s15, s1
	s_load_dwordx2 s[4:5], s[4:5], 0x0
	s_mov_b64 s[10:11], -1
	v_lshl_add_u32 v3, v0, 3, 0
	s_waitcnt lgkmcnt(0)
	s_mul_i32 s5, s5, s27
	s_mul_hi_u32 s6, s4, s27
	s_mul_i32 s4, s4, s27
	s_add_i32 s5, s6, s5
	s_add_u32 s6, s4, s41
	s_addc_u32 s7, s5, s40
	s_add_u32 s0, s28, s0
	s_addc_u32 s1, s29, s1
	s_load_dwordx2 s[0:1], s[0:1], 0x0
	s_add_i32 s4, s19, 7
	s_cmp_le_u32 s4, s33
	s_cselect_b64 s[4:5], -1, 0
	s_and_b64 vcc, exec, s[4:5]
	s_cbranch_vccnz .LBB0_13
; %bb.10:
	s_lshl_b64 s[10:11], s[6:7], 3
	s_add_u32 s12, s20, s10
	s_addc_u32 s14, s21, s11
	s_mov_b64 s[10:11], 0
	s_mov_b32 s13, 0xe2c5
	v_mov_b32_e32 v2, 0
	v_mov_b32_e32 v4, s14
	s_movk_i32 s14, 0x7e6
	v_mov_b32_e32 v5, v0
	v_mov_b32_e32 v6, v3
.LBB0_11:                               ; =>This Inner Loop Header: Depth=1
	v_mul_u32_u24_sdwa v1, v5, s13 dst_sel:DWORD dst_unused:UNUSED_PAD src0_sel:WORD_0 src1_sel:DWORD
	v_lshrrev_b32_e32 v1, 24, v1
	v_mul_lo_u16_e32 v7, 0x121, v1
	v_sub_u16_e32 v11, v5, v7
	v_mul_lo_u32 v1, s26, v1
	v_mad_u64_u32 v[7:8], s[28:29], s24, v11, 0
	v_add_u32_e32 v5, 0x77, v5
	v_lshlrev_b64 v[9:10], 3, v[1:2]
	v_mov_b32_e32 v1, v8
	v_mad_u64_u32 v[11:12], s[28:29], s25, v11, v[1:2]
	v_mov_b32_e32 v8, v11
	v_lshlrev_b64 v[7:8], 3, v[7:8]
	v_add_co_u32_e32 v1, vcc, s12, v7
	v_addc_co_u32_e32 v8, vcc, v4, v8, vcc
	v_add_co_u32_e32 v7, vcc, v1, v9
	v_addc_co_u32_e32 v8, vcc, v8, v10, vcc
	global_load_dwordx2 v[7:8], v[7:8], off
	v_cmp_lt_u32_e32 vcc, s14, v5
	s_or_b64 s[10:11], vcc, s[10:11]
	s_waitcnt vmcnt(0)
	ds_write_b64 v6, v[7:8]
	v_add_u32_e32 v6, 0x3b8, v6
	s_andn2_b64 exec, exec, s[10:11]
	s_cbranch_execnz .LBB0_11
; %bb.12:
	s_or_b64 exec, exec, s[10:11]
	s_mov_b64 s[10:11], 0
.LBB0_13:
	s_and_b64 vcc, exec, s[10:11]
	s_cbranch_vccz .LBB0_15
; %bb.14:
	v_add_u32_e32 v1, 0xee, v0
	v_mul_u32_u24_e32 v2, 0xe3, v1
	v_lshrrev_b32_e32 v8, 16, v2
	v_mul_lo_u16_e32 v2, 0x121, v8
	v_sub_u16_e32 v6, v1, v2
	v_mad_u64_u32 v[1:2], s[10:11], s24, v6, 0
	s_lshl_b64 s[6:7], s[6:7], 3
	s_add_u32 s6, s20, s6
	v_mad_u64_u32 v[6:7], s[10:11], s25, v6, v[2:3]
	s_addc_u32 s7, s21, s7
	v_mov_b32_e32 v7, 0
	v_mov_b32_e32 v2, v6
	v_mul_lo_u32 v6, s26, v8
	v_add_u32_e32 v8, 0x165, v0
	v_mul_u32_u24_e32 v9, 0xe3, v8
	v_lshrrev_b32_e32 v11, 16, v9
	v_mul_lo_u16_e32 v9, 0x121, v11
	v_sub_u16_e32 v12, v8, v9
	v_mad_u64_u32 v[8:9], s[10:11], s24, v12, 0
	v_lshlrev_b64 v[1:2], 3, v[1:2]
	v_mov_b32_e32 v10, s7
	v_add_co_u32_e32 v14, vcc, s6, v1
	v_addc_co_u32_e32 v15, vcc, v10, v2, vcc
	v_lshlrev_b64 v[1:2], 3, v[6:7]
	v_mov_b32_e32 v6, v9
	v_mad_u64_u32 v[9:10], s[10:11], s25, v12, v[6:7]
	v_mul_lo_u32 v6, s26, v11
	v_add_co_u32_e32 v1, vcc, v14, v1
	v_lshlrev_b64 v[8:9], 3, v[8:9]
	v_addc_co_u32_e32 v2, vcc, v15, v2, vcc
	v_mov_b32_e32 v10, s7
	v_add_co_u32_e32 v12, vcc, s6, v8
	v_addc_co_u32_e32 v14, vcc, v10, v9, vcc
	v_lshlrev_b64 v[8:9], 3, v[6:7]
	v_add_u32_e32 v6, 0x1dc, v0
	v_mul_u32_u24_e32 v10, 0xe3, v6
	v_lshrrev_b32_e32 v15, 16, v10
	v_mul_lo_u16_e32 v10, 0x121, v15
	v_sub_u16_e32 v16, v6, v10
	v_mad_u64_u32 v[10:11], s[10:11], s24, v16, 0
	v_and_b32_e32 v13, 0xffff, v0
	v_mad_u64_u32 v[4:5], s[10:11], s24, v13, 0
	v_mov_b32_e32 v6, v11
	v_add_co_u32_e32 v8, vcc, v12, v8
	v_mad_u64_u32 v[11:12], s[10:11], s25, v16, v[6:7]
	v_add_u32_e32 v12, 0x253, v0
	v_mad_u64_u32 v[5:6], s[10:11], s25, v13, v[5:6]
	v_mul_u32_u24_e32 v13, 0xe3, v12
	v_mul_lo_u32 v6, s26, v15
	v_lshrrev_b32_e32 v15, 16, v13
	v_mul_lo_u16_e32 v13, 0x121, v15
	v_sub_u16_e32 v17, v12, v13
	v_mad_u64_u32 v[12:13], s[10:11], s24, v17, 0
	v_lshlrev_b64 v[10:11], 3, v[10:11]
	v_addc_co_u32_e32 v9, vcc, v14, v9, vcc
	v_mov_b32_e32 v14, s7
	v_add_co_u32_e32 v18, vcc, s6, v10
	v_addc_co_u32_e32 v19, vcc, v14, v11, vcc
	v_lshlrev_b64 v[10:11], 3, v[6:7]
	v_mov_b32_e32 v6, v13
	v_mad_u64_u32 v[13:14], s[10:11], s25, v17, v[6:7]
	v_mul_lo_u32 v6, s26, v15
	v_add_co_u32_e32 v10, vcc, v18, v10
	v_lshlrev_b64 v[12:13], 3, v[12:13]
	v_addc_co_u32_e32 v11, vcc, v19, v11, vcc
	v_mov_b32_e32 v14, s7
	v_add_co_u32_e32 v15, vcc, s6, v12
	v_addc_co_u32_e32 v14, vcc, v14, v13, vcc
	v_lshlrev_b64 v[12:13], 3, v[6:7]
	v_add_u32_e32 v16, 0x77, v0
	v_add_co_u32_e32 v12, vcc, v15, v12
	v_addc_co_u32_e32 v13, vcc, v14, v13, vcc
	v_mad_u64_u32 v[14:15], s[10:11], s24, v16, 0
	v_lshlrev_b64 v[4:5], 3, v[4:5]
	v_mov_b32_e32 v17, s7
	v_mov_b32_e32 v6, v15
	v_mad_u64_u32 v[15:16], s[10:11], s25, v16, v[6:7]
	v_add_u32_e32 v6, 0x2ca, v0
	v_mul_u32_u24_e32 v16, 0xe3, v6
	v_lshrrev_b32_e32 v19, 16, v16
	v_mul_lo_u16_e32 v16, 0x121, v19
	v_add_co_u32_e32 v4, vcc, s6, v4
	v_sub_u16_e32 v18, v6, v16
	v_addc_co_u32_e32 v5, vcc, v17, v5, vcc
	v_mad_u64_u32 v[16:17], s[10:11], s24, v18, 0
	v_lshlrev_b64 v[14:15], 3, v[14:15]
	v_mov_b32_e32 v20, s7
	v_mov_b32_e32 v6, v17
	v_mad_u64_u32 v[17:18], s[10:11], s25, v18, v[6:7]
	v_add_u32_e32 v18, 0x341, v0
	v_mul_lo_u32 v6, s26, v19
	v_mul_u32_u24_e32 v19, 0xe3, v18
	v_lshrrev_b32_e32 v21, 16, v19
	v_mul_lo_u16_e32 v19, 0x121, v21
	v_sub_u16_e32 v22, v18, v19
	v_mad_u64_u32 v[18:19], s[10:11], s24, v22, 0
	v_add_co_u32_e32 v14, vcc, s6, v14
	v_lshlrev_b64 v[16:17], 3, v[16:17]
	v_addc_co_u32_e32 v15, vcc, v20, v15, vcc
	v_add_co_u32_e32 v23, vcc, s6, v16
	v_addc_co_u32_e32 v24, vcc, v20, v17, vcc
	v_lshlrev_b64 v[16:17], 3, v[6:7]
	v_mov_b32_e32 v6, v19
	v_mad_u64_u32 v[19:20], s[10:11], s25, v22, v[6:7]
	v_mul_lo_u32 v6, s26, v21
	v_add_co_u32_e32 v16, vcc, v23, v16
	v_lshlrev_b64 v[18:19], 3, v[18:19]
	v_addc_co_u32_e32 v17, vcc, v24, v17, vcc
	v_mov_b32_e32 v20, s7
	v_add_co_u32_e32 v22, vcc, s6, v18
	v_addc_co_u32_e32 v23, vcc, v20, v19, vcc
	v_lshlrev_b64 v[18:19], 3, v[6:7]
	v_add_u32_e32 v6, 0x3b8, v0
	v_mul_u32_u24_e32 v20, 0x717, v6
	v_lshrrev_b32_e32 v30, 19, v20
	v_mul_lo_u16_e32 v20, 0x121, v30
	v_sub_u16_e32 v24, v6, v20
	v_mad_u64_u32 v[20:21], s[10:11], s24, v24, 0
	v_add_co_u32_e32 v18, vcc, v22, v18
	v_mov_b32_e32 v6, v21
	v_mad_u64_u32 v[21:22], s[10:11], s25, v24, v[6:7]
	global_load_dwordx2 v[8:9], v[8:9], off
	v_addc_co_u32_e32 v19, vcc, v23, v19, vcc
	global_load_dwordx2 v[22:23], v[10:11], off
	global_load_dwordx2 v[24:25], v[12:13], off
	;; [unrolled: 1-line block ×4, first 2 shown]
	v_add_u32_e32 v12, 0x42f, v0
	v_mul_u32_u24_e32 v13, 0x717, v12
	v_lshrrev_b32_e32 v18, 19, v13
	v_mul_lo_u16_e32 v13, 0x121, v18
	v_sub_u16_e32 v17, v12, v13
	v_mul_lo_u32 v6, s26, v30
	v_mad_u64_u32 v[12:13], s[10:11], s24, v17, 0
	v_lshlrev_b64 v[10:11], 3, v[20:21]
	v_mov_b32_e32 v16, s7
	v_add_co_u32_e32 v19, vcc, s6, v10
	v_addc_co_u32_e32 v20, vcc, v16, v11, vcc
	v_lshlrev_b64 v[10:11], 3, v[6:7]
	v_mov_b32_e32 v6, v13
	v_mad_u64_u32 v[16:17], s[10:11], s25, v17, v[6:7]
	v_add_co_u32_e32 v10, vcc, v19, v10
	v_mov_b32_e32 v13, v16
	v_add_u32_e32 v16, 0x4a6, v0
	v_mul_u32_u24_e32 v17, 0x717, v16
	v_lshrrev_b32_e32 v19, 19, v17
	v_mul_lo_u16_e32 v17, 0x121, v19
	v_addc_co_u32_e32 v11, vcc, v20, v11, vcc
	v_sub_u16_e32 v20, v16, v17
	v_mul_lo_u32 v6, s26, v18
	v_mad_u64_u32 v[16:17], s[10:11], s24, v20, 0
	v_lshlrev_b64 v[12:13], 3, v[12:13]
	v_mov_b32_e32 v18, s7
	v_add_co_u32_e32 v21, vcc, s6, v12
	v_addc_co_u32_e32 v30, vcc, v18, v13, vcc
	v_lshlrev_b64 v[12:13], 3, v[6:7]
	v_mov_b32_e32 v6, v17
	v_mad_u64_u32 v[17:18], s[10:11], s25, v20, v[6:7]
	v_add_u32_e32 v18, 0x51d, v0
	v_mul_lo_u32 v6, s26, v19
	v_mul_u32_u24_e32 v19, 0x717, v18
	v_add_co_u32_e32 v12, vcc, v21, v12
	v_lshrrev_b32_e32 v21, 19, v19
	v_mul_lo_u16_e32 v19, 0x121, v21
	v_addc_co_u32_e32 v13, vcc, v30, v13, vcc
	v_sub_u16_e32 v30, v18, v19
	v_mad_u64_u32 v[18:19], s[10:11], s24, v30, 0
	v_lshlrev_b64 v[16:17], 3, v[16:17]
	v_mov_b32_e32 v20, s7
	v_add_co_u32_e32 v31, vcc, s6, v16
	v_addc_co_u32_e32 v32, vcc, v20, v17, vcc
	v_lshlrev_b64 v[16:17], 3, v[6:7]
	v_mov_b32_e32 v6, v19
	v_mad_u64_u32 v[19:20], s[10:11], s25, v30, v[6:7]
	v_add_u32_e32 v20, 0x594, v0
	v_add_co_u32_e32 v16, vcc, v31, v16
	v_mul_lo_u32 v6, s26, v21
	v_mul_u32_u24_e32 v21, 0x717, v20
	v_addc_co_u32_e32 v17, vcc, v32, v17, vcc
	v_lshrrev_b32_e32 v32, 19, v21
	v_mul_lo_u16_e32 v21, 0x121, v32
	v_sub_u16_e32 v31, v20, v21
	v_mad_u64_u32 v[20:21], s[10:11], s24, v31, 0
	v_lshlrev_b64 v[18:19], 3, v[18:19]
	v_mov_b32_e32 v30, s7
	v_add_co_u32_e32 v33, vcc, s6, v18
	v_addc_co_u32_e32 v34, vcc, v30, v19, vcc
	v_lshlrev_b64 v[18:19], 3, v[6:7]
	v_mov_b32_e32 v6, v21
	v_mad_u64_u32 v[30:31], s[10:11], s25, v31, v[6:7]
	v_add_co_u32_e32 v18, vcc, v33, v18
	v_mov_b32_e32 v21, v30
	v_add_u32_e32 v30, 0x60b, v0
	v_mul_u32_u24_e32 v31, 0x717, v30
	v_lshrrev_b32_e32 v33, 19, v31
	v_mul_lo_u16_e32 v31, 0x121, v33
	v_addc_co_u32_e32 v19, vcc, v34, v19, vcc
	v_sub_u16_e32 v34, v30, v31
	v_mul_lo_u32 v6, s26, v32
	v_mad_u64_u32 v[30:31], s[10:11], s24, v34, 0
	v_lshlrev_b64 v[20:21], 3, v[20:21]
	v_mov_b32_e32 v32, s7
	v_add_co_u32_e32 v35, vcc, s6, v20
	v_addc_co_u32_e32 v36, vcc, v32, v21, vcc
	v_lshlrev_b64 v[20:21], 3, v[6:7]
	v_mov_b32_e32 v6, v31
	v_mad_u64_u32 v[31:32], s[10:11], s25, v34, v[6:7]
	v_add_u32_e32 v32, 0x682, v0
	v_mul_lo_u32 v6, s26, v33
	v_mul_u32_u24_e32 v33, 0x717, v32
	v_add_co_u32_e32 v20, vcc, v35, v20
	v_lshrrev_b32_e32 v35, 19, v33
	v_mul_lo_u16_e32 v33, 0x121, v35
	v_addc_co_u32_e32 v21, vcc, v36, v21, vcc
	v_sub_u16_e32 v36, v32, v33
	v_mad_u64_u32 v[32:33], s[10:11], s24, v36, 0
	v_lshlrev_b64 v[30:31], 3, v[30:31]
	v_mov_b32_e32 v34, s7
	v_add_co_u32_e32 v37, vcc, s6, v30
	v_addc_co_u32_e32 v38, vcc, v34, v31, vcc
	v_lshlrev_b64 v[30:31], 3, v[6:7]
	v_mov_b32_e32 v6, v33
	v_mad_u64_u32 v[33:34], s[10:11], s25, v36, v[6:7]
	v_add_u32_e32 v34, 0x6f9, v0
	v_mul_lo_u32 v6, s26, v35
	v_mul_u32_u24_e32 v35, 0x717, v34
	v_add_co_u32_e32 v30, vcc, v37, v30
	v_lshrrev_b32_e32 v37, 19, v35
	v_mul_lo_u16_e32 v35, 0x121, v37
	v_addc_co_u32_e32 v31, vcc, v38, v31, vcc
	v_sub_u16_e32 v38, v34, v35
	;; [unrolled: 16-line block ×3, first 2 shown]
	v_mad_u64_u32 v[36:37], s[10:11], s24, v40, 0
	v_lshlrev_b64 v[34:35], 3, v[34:35]
	v_mov_b32_e32 v38, s7
	v_add_co_u32_e32 v41, vcc, s6, v34
	v_addc_co_u32_e32 v42, vcc, v38, v35, vcc
	v_lshlrev_b64 v[34:35], 3, v[6:7]
	v_mov_b32_e32 v6, v37
	v_mad_u64_u32 v[37:38], s[10:11], s25, v40, v[6:7]
	v_add_co_u32_e32 v34, vcc, v41, v34
	v_lshlrev_b64 v[36:37], 3, v[36:37]
	v_addc_co_u32_e32 v35, vcc, v42, v35, vcc
	v_mul_lo_u32 v6, s26, v39
	v_mov_b32_e32 v38, s7
	v_add_co_u32_e32 v42, vcc, s6, v36
	v_addc_co_u32_e32 v43, vcc, v38, v37, vcc
	global_load_dwordx2 v[36:37], v[4:5], off
	global_load_dwordx2 v[38:39], v[1:2], off
	;; [unrolled: 1-line block ×3, first 2 shown]
	v_lshlrev_b64 v[6:7], 3, v[6:7]
	v_add_co_u32_e32 v1, vcc, v42, v6
	v_addc_co_u32_e32 v2, vcc, v43, v7, vcc
	global_load_dwordx2 v[4:5], v[10:11], off
	global_load_dwordx2 v[6:7], v[12:13], off
	global_load_dwordx2 v[14:15], v[16:17], off
	global_load_dwordx2 v[42:43], v[18:19], off
	global_load_dwordx2 v[44:45], v[20:21], off
	global_load_dwordx2 v[46:47], v[30:31], off
	global_load_dwordx2 v[48:49], v[32:33], off
	global_load_dwordx2 v[50:51], v[34:35], off
	global_load_dwordx2 v[52:53], v[1:2], off
	v_add_u32_e32 v1, 0x400, v3
	s_waitcnt vmcnt(10)
	ds_write2_b64 v1, v[38:39], v[8:9] offset0:110 offset1:229
	v_add_u32_e32 v1, 0xc00, v3
	ds_write2_b64 v1, v[22:23], v[24:25] offset0:92 offset1:211
	s_waitcnt vmcnt(9)
	ds_write2_b64 v3, v[36:37], v[40:41] offset1:119
	v_add_u32_e32 v1, 0x1400, v3
	ds_write2_b64 v1, v[26:27], v[28:29] offset0:74 offset1:193
	v_add_u32_e32 v1, 0x1c00, v3
	s_waitcnt vmcnt(7)
	ds_write2_b64 v1, v[4:5], v[6:7] offset0:56 offset1:175
	v_add_u32_e32 v1, 0x2400, v3
	s_waitcnt vmcnt(5)
	ds_write2_b64 v1, v[14:15], v[42:43] offset0:38 offset1:157
	v_add_u32_e32 v1, 0x2c00, v3
	s_waitcnt vmcnt(3)
	ds_write2_b64 v1, v[44:45], v[46:47] offset0:20 offset1:139
	v_add_u32_e32 v1, 0x3000, v3
	s_waitcnt vmcnt(1)
	ds_write2_b64 v1, v[48:49], v[50:51] offset0:130 offset1:249
	s_waitcnt vmcnt(0)
	ds_write_b64 v3, v[52:53] offset:15232
.LBB0_15:
	s_movk_i32 s6, 0xf10
	v_mul_u32_u24_sdwa v1, v0, s6 dst_sel:DWORD dst_unused:UNUSED_PAD src0_sel:WORD_0 src1_sel:DWORD
	v_add_u32_sdwa v1, s19, v1 dst_sel:DWORD dst_unused:UNUSED_PAD src0_sel:DWORD src1_sel:WORD_1
	s_mov_b32 s6, 0x24924925
	v_mul_hi_u32 v2, v1, s6
	s_mov_b32 s7, 0xf0f0f10
	v_mul_hi_u32 v3, v0, s7
	s_waitcnt lgkmcnt(0)
	v_sub_u32_e32 v4, v1, v2
	v_lshrrev_b32_e32 v4, 1, v4
	v_add_u32_e32 v2, v4, v2
	v_lshrrev_b32_e32 v2, 2, v2
	v_mul_lo_u32 v2, v2, 7
	v_mul_u32_u24_e32 v3, 17, v3
	v_sub_u32_e32 v30, v0, v3
	s_barrier
	v_sub_u32_e32 v1, v1, v2
	v_mul_u32_u24_e32 v1, 0x121, v1
	v_lshlrev_b32_e32 v1, 3, v1
	v_add_u32_e32 v31, 0, v1
	v_lshlrev_b32_e32 v2, 3, v30
	v_add_u32_e32 v29, v31, v2
	ds_read_b64 v[19:20], v29
	v_add3_u32 v33, 0, v2, v1
	v_add_u32_e32 v17, 0x400, v33
	ds_read2_b64 v[21:24], v33 offset0:17 offset1:34
	ds_read2_b64 v[43:46], v33 offset0:51 offset1:68
	ds_read2_b64 v[9:12], v33 offset0:85 offset1:102
	ds_read2_b64 v[1:4], v33 offset0:119 offset1:136
	ds_read2_b64 v[5:8], v33 offset0:153 offset1:170
	ds_read2_b64 v[13:16], v33 offset0:187 offset1:204
	ds_read2_b64 v[51:54], v33 offset0:221 offset1:238
	ds_read2_b64 v[34:37], v17 offset0:127 offset1:144
	s_waitcnt lgkmcnt(7)
	v_add_f32_e32 v17, v19, v21
	v_add_f32_e32 v18, v20, v22
	v_add_f32_e32 v17, v17, v23
	v_add_f32_e32 v18, v18, v24
	s_waitcnt lgkmcnt(6)
	v_add_f32_e32 v17, v17, v43
	v_add_f32_e32 v18, v18, v44
	v_add_f32_e32 v17, v17, v45
	v_add_f32_e32 v18, v18, v46
	;; [unrolled: 5-line block ×6, first 2 shown]
	s_waitcnt lgkmcnt(0)
	v_sub_f32_e32 v50, v22, v37
	v_add_f32_e32 v17, v17, v51
	v_add_f32_e32 v18, v18, v52
	v_add_f32_e32 v49, v36, v21
	v_sub_f32_e32 v38, v21, v36
	v_mul_f32_e32 v21, 0xbeb8f4ab, v50
	s_mov_b32 s11, 0x3f6eb680
	v_add_f32_e32 v17, v17, v53
	v_add_f32_e32 v18, v18, v54
	v_mov_b32_e32 v41, v21
	v_fma_f32 v42, v49, s11, -v21
	v_mul_f32_e32 v21, 0xbf2c7751, v50
	s_mov_b32 s10, 0x3f3d2fb0
	v_add_f32_e32 v17, v17, v34
	v_add_f32_e32 v18, v18, v35
	v_add_f32_e32 v40, v37, v22
	v_mov_b32_e32 v47, v21
	v_fma_f32 v48, v49, s10, -v21
	v_mul_f32_e32 v55, 0xbf65296c, v50
	s_mov_b32 s7, 0x3ee437d1
	v_add_f32_e32 v21, v34, v23
	v_add_f32_e32 v25, v35, v24
	v_sub_f32_e32 v22, v23, v34
	v_sub_f32_e32 v32, v24, v35
	v_add_f32_e32 v23, v53, v43
	v_sub_f32_e32 v24, v43, v53
	v_add_f32_e32 v26, v51, v45
	v_add_f32_e32 v35, v52, v46
	v_sub_f32_e32 v27, v45, v51
	v_sub_f32_e32 v39, v46, v52
	v_add_f32_e32 v34, v15, v9
	v_sub_f32_e32 v9, v9, v15
	v_add_f32_e32 v45, v13, v11
	v_sub_f32_e32 v46, v11, v13
	v_mul_f32_e32 v13, 0xbf7ee86f, v50
	v_mul_f32_e32 v15, 0xbf763a35, v50
	;; [unrolled: 1-line block ×5, first 2 shown]
	v_add_f32_e32 v17, v17, v36
	v_add_f32_e32 v18, v18, v37
	;; [unrolled: 1-line block ×3, first 2 shown]
	v_sub_f32_e32 v36, v44, v54
	v_add_f32_e32 v37, v16, v10
	v_sub_f32_e32 v10, v10, v16
	v_add_f32_e32 v44, v14, v12
	v_sub_f32_e32 v43, v12, v14
	v_mov_b32_e32 v11, v55
	v_fma_f32 v12, v49, s7, -v55
	s_mov_b32 s12, 0x3dbcf732
	v_mov_b32_e32 v14, v13
	s_mov_b32 s13, 0xbe8c1d8e
	v_mov_b32_e32 v16, v15
	;; [unrolled: 2-line block ×5, first 2 shown]
	v_fmac_f32_e32 v41, 0x3f6eb680, v49
	v_fmac_f32_e32 v47, 0x3f3d2fb0, v49
	v_fmac_f32_e32 v11, 0x3ee437d1, v49
	v_fmac_f32_e32 v14, 0x3dbcf732, v49
	v_fma_f32 v13, v49, s12, -v13
	v_fmac_f32_e32 v16, 0xbe8c1d8e, v49
	v_fma_f32 v15, v49, s13, -v15
	v_fmac_f32_e32 v52, 0xbf1a4643, v49
	;; [unrolled: 2-line block ×4, first 2 shown]
	v_fma_f32 v49, v49, s20, -v50
	v_mul_f32_e32 v50, 0x3f6eb680, v40
	v_mul_f32_e32 v57, 0x3f3d2fb0, v40
	;; [unrolled: 1-line block ×8, first 2 shown]
	v_mov_b32_e32 v56, v50
	v_mov_b32_e32 v58, v57
	;; [unrolled: 1-line block ×8, first 2 shown]
	v_fmac_f32_e32 v56, 0x3eb8f4ab, v38
	v_fmac_f32_e32 v50, 0xbeb8f4ab, v38
	;; [unrolled: 1-line block ×16, first 2 shown]
	v_add_f32_e32 v38, v19, v41
	v_add_f32_e32 v41, v20, v56
	;; [unrolled: 1-line block ×17, first 2 shown]
	v_mul_f32_e32 v40, 0xbf2c7751, v32
	v_add_f32_e32 v42, v19, v42
	v_add_f32_e32 v47, v19, v47
	;; [unrolled: 1-line block ×15, first 2 shown]
	v_mov_b32_e32 v49, v40
	v_fmac_f32_e32 v49, 0x3f3d2fb0, v21
	v_add_f32_e32 v38, v49, v38
	v_mul_f32_e32 v49, 0x3f3d2fb0, v25
	v_mov_b32_e32 v69, v49
	v_fma_f32 v40, v21, s10, -v40
	v_fmac_f32_e32 v49, 0xbf2c7751, v22
	v_add_f32_e32 v40, v40, v42
	v_add_f32_e32 v42, v49, v50
	v_mul_f32_e32 v49, 0xbf7ee86f, v32
	v_mov_b32_e32 v50, v49
	v_fmac_f32_e32 v50, 0x3dbcf732, v21
	v_fmac_f32_e32 v69, 0x3f2c7751, v22
	v_add_f32_e32 v47, v50, v47
	v_mul_f32_e32 v50, 0x3dbcf732, v25
	v_add_f32_e32 v41, v69, v41
	v_mov_b32_e32 v69, v50
	v_fma_f32 v49, v21, s12, -v49
	v_fmac_f32_e32 v50, 0xbf7ee86f, v22
	v_add_f32_e32 v48, v49, v48
	v_add_f32_e32 v49, v50, v57
	v_mul_f32_e32 v50, 0xbf4c4adb, v32
	v_mov_b32_e32 v57, v50
	v_fmac_f32_e32 v57, 0xbf1a4643, v21
	v_fmac_f32_e32 v69, 0x3f7ee86f, v22
	v_add_f32_e32 v11, v57, v11
	v_mul_f32_e32 v57, 0xbf1a4643, v25
	v_add_f32_e32 v56, v69, v56
	;; [unrolled: 12-line block ×6, first 2 shown]
	v_mov_b32_e32 v69, v65
	v_fma_f32 v63, v21, s7, -v63
	v_fmac_f32_e32 v65, 0x3f65296c, v22
	v_mul_f32_e32 v32, 0x3eb8f4ab, v32
	v_add_f32_e32 v53, v63, v53
	v_add_f32_e32 v63, v65, v67
	v_mov_b32_e32 v65, v32
	v_fmac_f32_e32 v65, 0x3f6eb680, v21
	v_mul_f32_e32 v25, 0x3f6eb680, v25
	v_fma_f32 v21, v21, s11, -v32
	v_add_f32_e32 v55, v65, v55
	v_mov_b32_e32 v65, v25
	v_add_f32_e32 v19, v21, v19
	v_mul_f32_e32 v21, 0xbf65296c, v36
	v_fmac_f32_e32 v69, 0xbf65296c, v22
	v_fmac_f32_e32 v65, 0xbeb8f4ab, v22
	;; [unrolled: 1-line block ×3, first 2 shown]
	v_mov_b32_e32 v22, v21
	v_fmac_f32_e32 v22, 0x3ee437d1, v23
	v_add_f32_e32 v22, v22, v38
	v_fma_f32 v21, v23, s7, -v21
	v_mul_f32_e32 v38, 0xbf4c4adb, v36
	v_add_f32_e32 v21, v21, v40
	v_mov_b32_e32 v40, v38
	v_add_f32_e32 v20, v25, v20
	v_mul_f32_e32 v25, 0x3ee437d1, v28
	v_fmac_f32_e32 v40, 0xbf1a4643, v23
	v_mov_b32_e32 v32, v25
	v_add_f32_e32 v40, v40, v47
	v_fma_f32 v38, v23, s14, -v38
	v_mul_f32_e32 v47, 0x3e3c28d5, v36
	v_fmac_f32_e32 v32, 0x3f65296c, v24
	v_add_f32_e32 v38, v38, v48
	v_mov_b32_e32 v48, v47
	v_add_f32_e32 v32, v32, v41
	v_fmac_f32_e32 v25, 0xbf65296c, v24
	v_mul_f32_e32 v41, 0xbf1a4643, v28
	v_fmac_f32_e32 v48, 0xbf7ba420, v23
	v_add_f32_e32 v25, v25, v42
	v_mov_b32_e32 v42, v41
	v_fmac_f32_e32 v41, 0xbf4c4adb, v24
	v_add_f32_e32 v11, v48, v11
	v_mul_f32_e32 v48, 0xbf7ba420, v28
	v_add_f32_e32 v41, v41, v49
	v_mov_b32_e32 v49, v48
	v_fma_f32 v47, v23, s20, -v47
	v_fmac_f32_e32 v48, 0x3e3c28d5, v24
	v_add_f32_e32 v12, v47, v12
	v_add_f32_e32 v47, v48, v50
	v_mul_f32_e32 v48, 0x3f763a35, v36
	v_mov_b32_e32 v50, v48
	v_fmac_f32_e32 v50, 0xbe8c1d8e, v23
	v_fmac_f32_e32 v42, 0x3f4c4adb, v24
	v_add_f32_e32 v14, v50, v14
	v_mul_f32_e32 v50, 0xbe8c1d8e, v28
	v_add_f32_e32 v42, v42, v56
	v_mov_b32_e32 v56, v50
	v_fma_f32 v48, v23, s13, -v48
	v_fmac_f32_e32 v50, 0x3f763a35, v24
	v_add_f32_e32 v13, v48, v13
	v_add_f32_e32 v48, v50, v57
	v_mul_f32_e32 v50, 0x3f2c7751, v36
	v_mov_b32_e32 v57, v50
	v_fmac_f32_e32 v57, 0x3f3d2fb0, v23
	v_fmac_f32_e32 v49, 0xbe3c28d5, v24
	v_add_f32_e32 v16, v57, v16
	v_mul_f32_e32 v57, 0x3f3d2fb0, v28
	v_add_f32_e32 v49, v49, v58
	v_mov_b32_e32 v58, v57
	v_fma_f32 v50, v23, s10, -v50
	v_fmac_f32_e32 v57, 0x3f2c7751, v24
	v_add_f32_e32 v15, v50, v15
	v_add_f32_e32 v50, v57, v59
	v_mul_f32_e32 v57, 0xbeb8f4ab, v36
	v_mov_b32_e32 v59, v57
	v_fmac_f32_e32 v59, 0x3f6eb680, v23
	v_fmac_f32_e32 v56, 0xbf763a35, v24
	v_add_f32_e32 v52, v59, v52
	v_mul_f32_e32 v59, 0x3f6eb680, v28
	v_add_f32_e32 v56, v56, v60
	v_mov_b32_e32 v60, v59
	v_fma_f32 v57, v23, s11, -v57
	v_fmac_f32_e32 v59, 0xbeb8f4ab, v24
	v_add_f32_e32 v51, v57, v51
	v_add_f32_e32 v57, v59, v61
	v_mul_f32_e32 v59, 0xbf7ee86f, v36
	v_mov_b32_e32 v61, v59
	v_fmac_f32_e32 v61, 0x3dbcf732, v23
	v_fmac_f32_e32 v58, 0xbf2c7751, v24
	v_add_f32_e32 v54, v61, v54
	v_mul_f32_e32 v61, 0x3dbcf732, v28
	v_add_f32_e32 v58, v58, v62
	v_mov_b32_e32 v62, v61
	v_fma_f32 v59, v23, s12, -v59
	v_fmac_f32_e32 v61, 0xbf7ee86f, v24
	v_mul_f32_e32 v36, 0xbf06c442, v36
	v_add_f32_e32 v53, v59, v53
	v_add_f32_e32 v59, v61, v63
	v_mov_b32_e32 v61, v36
	v_fmac_f32_e32 v61, 0xbf59a7d5, v23
	v_mul_f32_e32 v28, 0xbf59a7d5, v28
	v_fma_f32 v23, v23, s15, -v36
	v_add_f32_e32 v55, v61, v55
	v_mov_b32_e32 v61, v28
	v_add_f32_e32 v19, v23, v19
	v_mul_f32_e32 v23, 0xbf7ee86f, v39
	v_fmac_f32_e32 v60, 0x3eb8f4ab, v24
	v_fmac_f32_e32 v62, 0x3f7ee86f, v24
	v_fmac_f32_e32 v61, 0x3f06c442, v24
	v_fmac_f32_e32 v28, 0xbf06c442, v24
	v_mov_b32_e32 v24, v23
	v_fmac_f32_e32 v24, 0x3dbcf732, v26
	v_add_f32_e32 v22, v24, v22
	v_mul_f32_e32 v24, 0x3dbcf732, v35
	v_add_f32_e32 v20, v28, v20
	v_mov_b32_e32 v28, v24
	v_fma_f32 v23, v26, s12, -v23
	v_fmac_f32_e32 v24, 0xbf7ee86f, v27
	v_add_f32_e32 v21, v23, v21
	v_add_f32_e32 v23, v24, v25
	v_mul_f32_e32 v24, 0xbe3c28d5, v39
	v_mov_b32_e32 v25, v24
	v_fma_f32 v24, v26, s20, -v24
	v_fmac_f32_e32 v25, 0xbf7ba420, v26
	v_add_f32_e32 v24, v24, v38
	v_mul_f32_e32 v38, 0x3f763a35, v39
	v_fmac_f32_e32 v28, 0x3f7ee86f, v27
	v_add_f32_e32 v25, v25, v40
	v_mov_b32_e32 v40, v38
	v_add_f32_e32 v28, v28, v32
	v_mul_f32_e32 v32, 0xbf7ba420, v35
	v_fmac_f32_e32 v40, 0xbe8c1d8e, v26
	v_mov_b32_e32 v36, v32
	v_fmac_f32_e32 v32, 0xbe3c28d5, v27
	v_add_f32_e32 v11, v40, v11
	v_mul_f32_e32 v40, 0xbe8c1d8e, v35
	v_add_f32_e32 v32, v32, v41
	v_mov_b32_e32 v41, v40
	v_fma_f32 v38, v26, s13, -v38
	v_fmac_f32_e32 v40, 0x3f763a35, v27
	v_fmac_f32_e32 v36, 0x3e3c28d5, v27
	v_add_f32_e32 v12, v38, v12
	v_add_f32_e32 v38, v40, v47
	v_mul_f32_e32 v40, 0x3eb8f4ab, v39
	v_add_f32_e32 v36, v36, v42
	v_mov_b32_e32 v42, v40
	v_fmac_f32_e32 v42, 0x3f6eb680, v26
	v_add_f32_e32 v14, v42, v14
	v_mul_f32_e32 v42, 0x3f6eb680, v35
	v_mov_b32_e32 v47, v42
	v_fma_f32 v40, v26, s11, -v40
	v_fmac_f32_e32 v42, 0x3eb8f4ab, v27
	v_add_f32_e32 v13, v40, v13
	v_add_f32_e32 v40, v42, v48
	v_mul_f32_e32 v42, 0xbf65296c, v39
	v_mov_b32_e32 v48, v42
	v_fmac_f32_e32 v48, 0x3ee437d1, v26
	v_fmac_f32_e32 v41, 0xbf763a35, v27
	v_add_f32_e32 v16, v48, v16
	v_mul_f32_e32 v48, 0x3ee437d1, v35
	v_add_f32_e32 v41, v41, v49
	v_mov_b32_e32 v49, v48
	v_fma_f32 v42, v26, s7, -v42
	v_fmac_f32_e32 v48, 0xbf65296c, v27
	v_add_f32_e32 v15, v42, v15
	v_add_f32_e32 v42, v48, v50
	v_mul_f32_e32 v48, 0xbf06c442, v39
	v_mov_b32_e32 v50, v48
	v_fmac_f32_e32 v50, 0xbf59a7d5, v26
	v_fmac_f32_e32 v47, 0xbeb8f4ab, v27
	v_add_f32_e32 v50, v50, v52
	v_mul_f32_e32 v52, 0xbf59a7d5, v35
	v_add_f32_e32 v47, v47, v56
	;; [unrolled: 12-line block ×3, first 2 shown]
	v_mov_b32_e32 v58, v57
	v_fma_f32 v52, v26, s14, -v52
	v_fmac_f32_e32 v57, 0x3f4c4adb, v27
	v_mul_f32_e32 v39, 0x3f2c7751, v39
	v_add_f32_e32 v52, v52, v53
	v_add_f32_e32 v53, v57, v59
	v_mov_b32_e32 v57, v39
	v_fmac_f32_e32 v57, 0x3f3d2fb0, v26
	v_mul_f32_e32 v35, 0x3f3d2fb0, v35
	v_fma_f32 v26, v26, s10, -v39
	v_add_f32_e32 v55, v57, v55
	v_mov_b32_e32 v57, v35
	v_add_f32_e32 v19, v26, v19
	v_mul_f32_e32 v26, 0xbf763a35, v10
	v_fmac_f32_e32 v56, 0x3f06c442, v27
	v_fmac_f32_e32 v58, 0xbf4c4adb, v27
	v_fmac_f32_e32 v57, 0xbf2c7751, v27
	v_fmac_f32_e32 v35, 0x3f2c7751, v27
	v_mov_b32_e32 v27, v26
	v_fmac_f32_e32 v27, 0xbe8c1d8e, v34
	v_add_f32_e32 v22, v27, v22
	v_mul_f32_e32 v27, 0xbe8c1d8e, v37
	v_fma_f32 v26, v34, s13, -v26
	v_add_f32_e32 v20, v35, v20
	v_mov_b32_e32 v35, v27
	v_add_f32_e32 v21, v26, v21
	v_fmac_f32_e32 v27, 0xbf763a35, v9
	v_mul_f32_e32 v26, 0x3f06c442, v10
	v_add_f32_e32 v23, v27, v23
	v_mov_b32_e32 v27, v26
	v_fmac_f32_e32 v27, 0xbf59a7d5, v34
	v_fmac_f32_e32 v35, 0x3f763a35, v9
	v_add_f32_e32 v25, v27, v25
	v_mul_f32_e32 v27, 0xbf59a7d5, v37
	v_add_f32_e32 v28, v35, v28
	v_mov_b32_e32 v35, v27
	v_fma_f32 v26, v34, s15, -v26
	v_fmac_f32_e32 v27, 0x3f06c442, v9
	v_add_f32_e32 v24, v26, v24
	v_add_f32_e32 v26, v27, v32
	v_mul_f32_e32 v27, 0x3f2c7751, v10
	v_mov_b32_e32 v32, v27
	v_fmac_f32_e32 v32, 0x3f3d2fb0, v34
	v_fmac_f32_e32 v35, 0xbf06c442, v9
	v_add_f32_e32 v32, v32, v11
	v_mul_f32_e32 v11, 0x3f3d2fb0, v37
	v_add_f32_e32 v35, v35, v36
	v_mov_b32_e32 v36, v11
	v_fmac_f32_e32 v11, 0x3f2c7751, v9
	v_fma_f32 v27, v34, s10, -v27
	v_add_f32_e32 v38, v11, v38
	v_mul_f32_e32 v11, 0xbf65296c, v10
	v_add_f32_e32 v27, v27, v12
	v_mov_b32_e32 v12, v11
	v_fmac_f32_e32 v12, 0x3ee437d1, v34
	v_add_f32_e32 v39, v12, v14
	v_mul_f32_e32 v12, 0x3ee437d1, v37
	v_mov_b32_e32 v14, v12
	v_fmac_f32_e32 v36, 0xbf2c7751, v9
	v_fmac_f32_e32 v14, 0x3f65296c, v9
	v_fma_f32 v11, v34, s7, -v11
	v_add_f32_e32 v36, v36, v41
	v_add_f32_e32 v41, v14, v47
	;; [unrolled: 1-line block ×3, first 2 shown]
	v_fmac_f32_e32 v12, 0xbf65296c, v9
	v_mul_f32_e32 v11, 0xbe3c28d5, v10
	v_add_f32_e32 v40, v12, v40
	v_mov_b32_e32 v12, v11
	v_fmac_f32_e32 v12, 0xbf7ba420, v34
	v_add_f32_e32 v60, v60, v64
	v_add_f32_e32 v59, v12, v16
	v_mul_f32_e32 v12, 0xbf7ba420, v37
	v_fma_f32 v11, v34, s20, -v11
	v_add_f32_e32 v56, v56, v60
	v_mov_b32_e32 v13, v12
	v_add_f32_e32 v60, v11, v15
	v_fmac_f32_e32 v12, 0xbe3c28d5, v9
	v_mul_f32_e32 v11, 0x3f7ee86f, v10
	v_add_f32_e32 v42, v12, v42
	v_mov_b32_e32 v12, v11
	v_fmac_f32_e32 v12, 0x3dbcf732, v34
	v_fmac_f32_e32 v13, 0x3e3c28d5, v9
	v_add_f32_e32 v50, v12, v50
	v_mul_f32_e32 v12, 0x3dbcf732, v37
	v_fma_f32 v11, v34, s12, -v11
	v_add_f32_e32 v49, v13, v49
	v_mov_b32_e32 v13, v12
	v_add_f32_e32 v48, v11, v48
	v_fmac_f32_e32 v12, 0x3f7ee86f, v9
	v_mul_f32_e32 v11, 0xbeb8f4ab, v10
	v_add_f32_e32 v51, v12, v51
	v_mov_b32_e32 v12, v11
	v_fma_f32 v11, v34, s11, -v11
	v_mul_f32_e32 v10, 0xbf4c4adb, v10
	v_fmac_f32_e32 v12, 0x3f6eb680, v34
	v_add_f32_e32 v52, v11, v52
	v_mov_b32_e32 v11, v10
	v_fmac_f32_e32 v13, 0xbf7ee86f, v9
	v_add_f32_e32 v54, v12, v54
	v_mul_f32_e32 v12, 0x3f6eb680, v37
	v_fmac_f32_e32 v11, 0xbf1a4643, v34
	v_add_f32_e32 v66, v69, v66
	v_add_f32_e32 v65, v65, v68
	;; [unrolled: 1-line block ×3, first 2 shown]
	v_mov_b32_e32 v13, v12
	v_fmac_f32_e32 v12, 0xbeb8f4ab, v9
	v_add_f32_e32 v55, v11, v55
	v_mul_f32_e32 v11, 0xbf1a4643, v37
	v_add_f32_e32 v62, v62, v66
	v_add_f32_e32 v61, v61, v65
	;; [unrolled: 1-line block ×3, first 2 shown]
	v_mov_b32_e32 v12, v11
	v_fmac_f32_e32 v11, 0xbf4c4adb, v9
	v_add_f32_e32 v58, v58, v62
	v_add_f32_e32 v57, v57, v61
	v_fmac_f32_e32 v12, 0x3f4c4adb, v9
	v_add_f32_e32 v62, v11, v20
	v_mul_f32_e32 v11, 0xbf4c4adb, v43
	v_fmac_f32_e32 v13, 0x3eb8f4ab, v9
	v_add_f32_e32 v57, v12, v57
	v_fma_f32 v10, v34, s14, -v10
	v_mov_b32_e32 v9, v11
	v_mul_f32_e32 v12, 0xbf1a4643, v44
	v_mul_f32_e32 v15, 0x3f763a35, v43
	v_mul_f32_e32 v16, 0xbe8c1d8e, v44
	v_add_f32_e32 v58, v13, v58
	v_add_f32_e32 v61, v10, v19
	v_fmac_f32_e32 v9, 0xbf1a4643, v45
	v_mov_b32_e32 v10, v12
	v_fma_f32 v11, v45, s14, -v11
	v_mov_b32_e32 v13, v15
	v_mov_b32_e32 v14, v16
	v_fmac_f32_e32 v16, 0x3f763a35, v46
	v_add_f32_e32 v9, v9, v22
	v_fmac_f32_e32 v10, 0x3f4c4adb, v46
	v_add_f32_e32 v11, v11, v21
	v_fmac_f32_e32 v13, 0xbe8c1d8e, v45
	v_fmac_f32_e32 v14, 0xbf763a35, v46
	v_fma_f32 v15, v45, s13, -v15
	v_add_f32_e32 v16, v16, v26
	v_mul_f32_e32 v21, 0xbeb8f4ab, v43
	v_mul_f32_e32 v22, 0x3f6eb680, v44
	;; [unrolled: 1-line block ×5, first 2 shown]
	v_add_f32_e32 v10, v10, v28
	v_fmac_f32_e32 v12, 0xbf4c4adb, v46
	v_add_f32_e32 v13, v13, v25
	v_add_f32_e32 v14, v14, v35
	;; [unrolled: 1-line block ×3, first 2 shown]
	v_mov_b32_e32 v19, v21
	v_mov_b32_e32 v20, v22
	v_fmac_f32_e32 v22, 0xbeb8f4ab, v46
	v_mul_f32_e32 v25, 0xbf06c442, v43
	v_mov_b32_e32 v24, v26
	v_mov_b32_e32 v28, v34
	v_fmac_f32_e32 v34, 0x3f7ee86f, v46
	v_mov_b32_e32 v35, v37
	v_fma_f32 v37, v45, s10, -v37
	v_add_f32_e32 v12, v12, v23
	v_fmac_f32_e32 v19, 0x3f6eb680, v45
	v_fmac_f32_e32 v20, 0x3eb8f4ab, v46
	v_add_f32_e32 v22, v22, v38
	v_mov_b32_e32 v23, v25
	v_fmac_f32_e32 v24, 0x3f06c442, v46
	v_fma_f32 v25, v45, s15, -v25
	v_fmac_f32_e32 v26, 0xbf06c442, v46
	v_add_f32_e32 v34, v34, v42
	v_mul_f32_e32 v38, 0x3f3d2fb0, v44
	v_add_f32_e32 v37, v37, v48
	v_mul_f32_e32 v42, 0xbf7ba420, v44
	v_mul_f32_e32 v48, 0x3ee437d1, v44
	v_add_f32_e32 v19, v19, v32
	v_add_f32_e32 v20, v20, v36
	v_fma_f32 v21, v45, s11, -v21
	v_fmac_f32_e32 v23, 0xbf59a7d5, v45
	v_add_f32_e32 v24, v24, v41
	v_add_f32_e32 v25, v25, v47
	;; [unrolled: 1-line block ×3, first 2 shown]
	v_mul_f32_e32 v32, 0x3f7ee86f, v43
	v_mov_b32_e32 v36, v38
	v_mul_f32_e32 v41, 0xbe3c28d5, v43
	v_mov_b32_e32 v40, v42
	;; [unrolled: 2-line block ×3, first 2 shown]
	v_fmac_f32_e32 v48, 0x3f65296c, v46
	v_add_f32_e32 v21, v21, v27
	v_add_f32_e32 v23, v23, v39
	v_mov_b32_e32 v27, v32
	v_fmac_f32_e32 v28, 0xbf7ee86f, v46
	v_fmac_f32_e32 v36, 0x3f2c7751, v46
	;; [unrolled: 1-line block ×3, first 2 shown]
	v_mov_b32_e32 v39, v41
	v_fmac_f32_e32 v40, 0x3e3c28d5, v46
	v_fmac_f32_e32 v42, 0xbe3c28d5, v46
	v_mov_b32_e32 v43, v47
	v_fmac_f32_e32 v44, 0xbf65296c, v46
	v_add_f32_e32 v46, v48, v62
	v_add_f32_e32 v48, v8, v2
	v_sub_f32_e32 v2, v2, v8
	v_fmac_f32_e32 v27, 0x3dbcf732, v45
	v_fma_f32 v32, v45, s12, -v32
	v_fmac_f32_e32 v35, 0x3f3d2fb0, v45
	v_fmac_f32_e32 v39, 0xbf7ba420, v45
	v_fma_f32 v41, v45, s20, -v41
	v_fmac_f32_e32 v43, 0x3ee437d1, v45
	v_fma_f32 v45, v45, s7, -v47
	v_add_f32_e32 v47, v7, v1
	v_sub_f32_e32 v1, v1, v7
	v_mul_f32_e32 v7, 0xbf06c442, v2
	v_mov_b32_e32 v8, v7
	v_fmac_f32_e32 v8, 0xbf59a7d5, v47
	v_add_f32_e32 v8, v8, v9
	v_mul_f32_e32 v9, 0xbf59a7d5, v48
	v_fma_f32 v7, v47, s15, -v7
	v_add_f32_e32 v28, v28, v49
	v_mov_b32_e32 v49, v9
	v_add_f32_e32 v7, v7, v11
	v_fmac_f32_e32 v9, 0xbf06c442, v1
	v_mul_f32_e32 v11, 0x3f65296c, v2
	v_add_f32_e32 v9, v9, v12
	v_mov_b32_e32 v12, v11
	v_fmac_f32_e32 v12, 0x3ee437d1, v47
	v_fmac_f32_e32 v49, 0x3f06c442, v1
	v_add_f32_e32 v12, v12, v13
	v_mul_f32_e32 v13, 0x3ee437d1, v48
	v_fma_f32 v11, v47, s7, -v11
	v_add_f32_e32 v10, v49, v10
	v_mov_b32_e32 v49, v13
	v_add_f32_e32 v11, v11, v15
	v_fmac_f32_e32 v13, 0x3f65296c, v1
	v_mul_f32_e32 v15, 0xbf7ee86f, v2
	v_add_f32_e32 v13, v13, v16
	v_mov_b32_e32 v16, v15
	v_fmac_f32_e32 v16, 0x3dbcf732, v47
	;; [unrolled: 12-line block ×3, first 2 shown]
	v_fmac_f32_e32 v49, 0x3f7ee86f, v1
	v_add_f32_e32 v22, v22, v23
	v_mul_f32_e32 v23, 0xbf1a4643, v48
	v_fma_f32 v21, v47, s14, -v21
	v_add_f32_e32 v20, v49, v20
	v_mov_b32_e32 v49, v23
	v_add_f32_e32 v21, v21, v25
	v_fmac_f32_e32 v23, 0x3f4c4adb, v1
	v_mul_f32_e32 v25, 0xbeb8f4ab, v2
	v_add_f32_e32 v23, v23, v26
	v_mov_b32_e32 v26, v25
	v_add_f32_e32 v27, v27, v59
	v_fmac_f32_e32 v26, 0x3f6eb680, v47
	v_add_f32_e32 v32, v32, v60
	v_fmac_f32_e32 v49, 0xbf4c4adb, v1
	v_add_f32_e32 v26, v26, v27
	v_mul_f32_e32 v27, 0x3f6eb680, v48
	v_fma_f32 v25, v47, s11, -v25
	v_add_f32_e32 v24, v49, v24
	v_mov_b32_e32 v49, v27
	v_add_f32_e32 v25, v25, v32
	v_fmac_f32_e32 v27, 0xbeb8f4ab, v1
	v_mul_f32_e32 v32, 0xbe3c28d5, v2
	v_add_f32_e32 v27, v27, v34
	v_mov_b32_e32 v34, v32
	v_add_f32_e32 v35, v35, v50
	v_fmac_f32_e32 v49, 0x3eb8f4ab, v1
	v_fmac_f32_e32 v34, 0xbf7ba420, v47
	v_add_f32_e32 v28, v49, v28
	v_add_f32_e32 v49, v34, v35
	v_mul_f32_e32 v34, 0xbf7ba420, v48
	v_add_f32_e32 v38, v38, v51
	v_mov_b32_e32 v35, v34
	v_fmac_f32_e32 v34, 0xbe3c28d5, v1
	v_add_f32_e32 v36, v36, v56
	v_fmac_f32_e32 v35, 0x3e3c28d5, v1
	v_add_f32_e32 v51, v34, v38
	v_mul_f32_e32 v34, 0x3f2c7751, v2
	v_add_f32_e32 v41, v41, v52
	v_add_f32_e32 v50, v35, v36
	v_mov_b32_e32 v35, v34
	v_fma_f32 v34, v47, s10, -v34
	v_mul_f32_e32 v2, 0xbf763a35, v2
	v_add_f32_e32 v39, v39, v54
	v_fmac_f32_e32 v35, 0x3f3d2fb0, v47
	v_add_f32_e32 v41, v34, v41
	v_mov_b32_e32 v34, v2
	v_add_f32_e32 v43, v43, v55
	v_add_f32_e32 v52, v35, v39
	v_mul_f32_e32 v35, 0x3f3d2fb0, v48
	v_fmac_f32_e32 v34, 0xbe8c1d8e, v47
	v_add_f32_e32 v42, v42, v53
	v_mov_b32_e32 v36, v35
	v_fmac_f32_e32 v35, 0x3f2c7751, v1
	v_add_f32_e32 v43, v34, v43
	v_mul_f32_e32 v34, 0xbe8c1d8e, v48
	v_add_f32_e32 v42, v35, v42
	v_mov_b32_e32 v35, v34
	v_sub_f32_e32 v54, v4, v6
	v_add_f32_e32 v45, v45, v61
	v_fmac_f32_e32 v36, 0xbf2c7751, v1
	v_fmac_f32_e32 v35, 0x3f763a35, v1
	v_fma_f32 v2, v47, s13, -v2
	v_fmac_f32_e32 v34, 0xbf763a35, v1
	v_mul_f32_e32 v1, 0xbe3c28d5, v54
	v_fma_f32 v32, v47, s20, -v32
	v_add_f32_e32 v45, v2, v45
	v_add_f32_e32 v47, v5, v3
	v_mov_b32_e32 v2, v1
	v_add_f32_e32 v48, v6, v4
	v_fmac_f32_e32 v2, 0xbf7ba420, v47
	v_add_f32_e32 v46, v34, v46
	v_add_f32_e32 v34, v2, v8
	v_mul_f32_e32 v2, 0xbf7ba420, v48
	v_sub_f32_e32 v53, v3, v5
	v_mov_b32_e32 v3, v2
	v_add_f32_e32 v44, v44, v57
	v_fmac_f32_e32 v3, 0x3e3c28d5, v53
	v_add_f32_e32 v44, v35, v44
	v_add_f32_e32 v35, v3, v10
	v_mul_f32_e32 v3, 0x3eb8f4ab, v54
	v_mov_b32_e32 v4, v3
	v_add_f32_e32 v40, v40, v58
	v_fmac_f32_e32 v4, 0x3f6eb680, v47
	v_add_f32_e32 v40, v36, v40
	v_add_f32_e32 v36, v4, v12
	v_mul_f32_e32 v4, 0x3f6eb680, v48
	v_mov_b32_e32 v5, v4
	v_fmac_f32_e32 v5, 0xbeb8f4ab, v53
	v_add_f32_e32 v32, v32, v37
	v_add_f32_e32 v37, v5, v14
	v_mul_f32_e32 v5, 0xbf06c442, v54
	v_mov_b32_e32 v6, v5
	v_fmac_f32_e32 v6, 0xbf59a7d5, v47
	v_fma_f32 v1, v47, s20, -v1
	v_add_f32_e32 v38, v6, v16
	v_mul_f32_e32 v6, 0xbf59a7d5, v48
	v_add_f32_e32 v1, v1, v7
	v_mov_b32_e32 v7, v6
	v_fmac_f32_e32 v7, 0x3f06c442, v53
	v_add_f32_e32 v39, v7, v20
	v_mul_f32_e32 v7, 0x3f2c7751, v54
	v_mov_b32_e32 v8, v7
	v_fma_f32 v3, v47, s11, -v3
	v_fmac_f32_e32 v8, 0x3f3d2fb0, v47
	v_fmac_f32_e32 v2, 0xbe3c28d5, v53
	v_add_f32_e32 v3, v3, v11
	v_add_f32_e32 v11, v8, v22
	v_mul_f32_e32 v8, 0x3f3d2fb0, v48
	v_add_f32_e32 v2, v2, v9
	v_mov_b32_e32 v9, v8
	v_fmac_f32_e32 v9, 0xbf2c7751, v53
	v_add_f32_e32 v12, v9, v24
	v_mul_f32_e32 v9, 0xbf4c4adb, v54
	v_mov_b32_e32 v10, v9
	v_fmac_f32_e32 v4, 0x3eb8f4ab, v53
	v_fma_f32 v5, v47, s15, -v5
	v_fma_f32 v7, v47, s10, -v7
	v_fmac_f32_e32 v10, 0xbf1a4643, v47
	v_add_f32_e32 v4, v4, v13
	v_add_f32_e32 v5, v5, v15
	;; [unrolled: 1-line block ×4, first 2 shown]
	v_mul_f32_e32 v10, 0xbf1a4643, v48
	v_mul_f32_e32 v15, 0x3f65296c, v54
	v_mul_f32_e32 v21, 0xbf763a35, v54
	v_mov_b32_e32 v14, v10
	v_mov_b32_e32 v16, v15
	;; [unrolled: 1-line block ×3, first 2 shown]
	v_fmac_f32_e32 v6, 0xbf06c442, v53
	v_fmac_f32_e32 v8, 0x3f2c7751, v53
	;; [unrolled: 1-line block ×6, first 2 shown]
	v_add_f32_e32 v6, v6, v19
	v_add_f32_e32 v8, v8, v23
	;; [unrolled: 1-line block ×3, first 2 shown]
	v_fma_f32 v9, v47, s14, -v9
	v_add_f32_e32 v10, v10, v27
	v_add_f32_e32 v19, v16, v49
	v_mul_f32_e32 v16, 0x3ee437d1, v48
	v_add_f32_e32 v23, v22, v52
	v_mul_f32_e32 v22, 0xbe8c1d8e, v48
	v_mul_f32_e32 v27, 0x3f7ee86f, v54
	;; [unrolled: 1-line block ×3, first 2 shown]
	v_add_f32_e32 v9, v9, v25
	v_mov_b32_e32 v20, v16
	v_mov_b32_e32 v24, v22
	;; [unrolled: 1-line block ×4, first 2 shown]
	s_movk_i32 s21, 0x88
	v_fmac_f32_e32 v20, 0xbf65296c, v53
	v_fma_f32 v15, v47, s7, -v15
	v_fmac_f32_e32 v16, 0x3f65296c, v53
	v_fmac_f32_e32 v24, 0x3f763a35, v53
	v_fma_f32 v21, v47, s13, -v21
	v_fmac_f32_e32 v22, 0xbf763a35, v53
	v_fmac_f32_e32 v25, 0x3dbcf732, v47
	;; [unrolled: 1-line block ×3, first 2 shown]
	v_fma_f32 v27, v47, s12, -v27
	v_fmac_f32_e32 v28, 0x3f7ee86f, v53
	v_mad_u32_u24 v31, v30, s21, v31
	v_add_f32_e32 v20, v20, v50
	v_add_f32_e32 v15, v15, v32
	;; [unrolled: 1-line block ×10, first 2 shown]
	s_barrier
	ds_write2_b64 v31, v[17:18], v[34:35] offset1:1
	ds_write2_b64 v31, v[36:37], v[38:39] offset0:2 offset1:3
	ds_write2_b64 v31, v[11:12], v[13:14] offset0:4 offset1:5
	ds_write2_b64 v31, v[19:20], v[23:24] offset0:6 offset1:7
	ds_write2_b64 v31, v[25:26], v[27:28] offset0:8 offset1:9
	ds_write2_b64 v31, v[21:22], v[15:16] offset0:10 offset1:11
	ds_write2_b64 v31, v[9:10], v[7:8] offset0:12 offset1:13
	ds_write2_b64 v31, v[5:6], v[3:4] offset0:14 offset1:15
	ds_write_b64 v31, v[1:2] offset:128
	v_lshlrev_b32_e32 v9, 7, v30
	s_waitcnt lgkmcnt(0)
	s_barrier
	global_load_dwordx4 v[1:4], v9, s[8:9]
	global_load_dwordx4 v[5:8], v9, s[8:9] offset:16
	global_load_dwordx4 v[10:13], v9, s[8:9] offset:32
	global_load_dwordx4 v[25:28], v9, s[8:9] offset:48
	global_load_dwordx4 v[34:37], v9, s[8:9] offset:64
	global_load_dwordx4 v[38:41], v9, s[8:9] offset:80
	global_load_dwordx4 v[42:45], v9, s[8:9] offset:96
	global_load_dwordx4 v[46:49], v9, s[8:9] offset:112
	ds_read2_b64 v[14:17], v33 offset0:17 offset1:34
	ds_read_b64 v[58:59], v29
	ds_read2_b64 v[29:32], v33 offset0:68 offset1:85
	s_waitcnt vmcnt(7) lgkmcnt(2)
	v_mul_f32_e32 v62, v2, v15
	v_mul_f32_e32 v2, v2, v14
	v_fmac_f32_e32 v62, v1, v14
	v_fma_f32 v63, v1, v15, -v2
	ds_read2_b32 v[14:15], v33 offset0:102 offset1:103
	v_mul_f32_e32 v64, v4, v17
	v_mul_f32_e32 v1, v4, v16
	v_fmac_f32_e32 v64, v3, v16
	v_fma_f32 v65, v3, v17, -v1
	ds_read2_b64 v[1:4], v33 offset0:102 offset1:119
	ds_read2_b64 v[50:53], v33 offset0:136 offset1:153
	ds_read_b64 v[60:61], v33 offset:2176
	s_waitcnt vmcnt(6) lgkmcnt(3)
	v_mul_f32_e32 v23, v15, v6
	v_mul_f32_e32 v6, v6, v14
	v_fmac_f32_e32 v23, v5, v14
	v_fma_f32 v24, v15, v5, -v6
	v_mul_f32_e32 v5, v29, v8
	v_mul_f32_e32 v19, v30, v8
	v_fma_f32 v20, v30, v7, -v5
	s_waitcnt vmcnt(5)
	v_mul_f32_e32 v15, v32, v11
	v_mul_f32_e32 v5, v31, v11
	s_waitcnt lgkmcnt(2)
	v_mul_f32_e32 v11, v2, v13
	v_fmac_f32_e32 v19, v29, v7
	v_fmac_f32_e32 v15, v31, v10
	v_fma_f32 v16, v32, v10, -v5
	ds_read2_b64 v[29:32], v33 offset0:170 offset1:187
	v_fmac_f32_e32 v11, v1, v12
	v_mul_f32_e32 v1, v1, v13
	v_fma_f32 v12, v2, v12, -v1
	s_waitcnt vmcnt(4)
	v_mul_f32_e32 v1, v3, v26
	v_mul_f32_e32 v7, v4, v26
	v_fma_f32 v8, v4, v25, -v1
	ds_read2_b64 v[54:57], v33 offset0:204 offset1:221
	s_waitcnt lgkmcnt(3)
	v_mul_f32_e32 v1, v50, v28
	v_fmac_f32_e32 v7, v3, v25
	v_mul_f32_e32 v3, v51, v28
	v_fma_f32 v4, v51, v27, -v1
	s_waitcnt vmcnt(3)
	v_mul_f32_e32 v5, v53, v35
	v_mul_f32_e32 v1, v52, v35
	v_fmac_f32_e32 v3, v50, v27
	v_fmac_f32_e32 v5, v52, v34
	v_fma_f32 v6, v53, v34, -v1
	ds_read2_b64 v[50:53], v33 offset0:238 offset1:255
	s_waitcnt lgkmcnt(2)
	v_mul_f32_e32 v1, v29, v37
	v_fma_f32 v10, v30, v36, -v1
	s_waitcnt vmcnt(2)
	v_mul_f32_e32 v1, v31, v39
	v_fma_f32 v14, v32, v38, -v1
	s_waitcnt lgkmcnt(1)
	v_mul_f32_e32 v1, v54, v41
	v_fma_f32 v18, v55, v40, -v1
	s_waitcnt vmcnt(1)
	v_mul_f32_e32 v1, v56, v43
	v_fma_f32 v22, v57, v42, -v1
	s_waitcnt lgkmcnt(0)
	v_mul_f32_e32 v1, v50, v45
	v_add_f32_e32 v2, v63, v59
	v_fma_f32 v26, v51, v44, -v1
	s_waitcnt vmcnt(0)
	v_mul_f32_e32 v1, v52, v47
	v_add_f32_e32 v2, v2, v65
	v_fma_f32 v28, v53, v46, -v1
	v_mul_f32_e32 v1, v60, v49
	v_add_f32_e32 v2, v2, v24
	v_mul_f32_e32 v9, v30, v37
	v_fma_f32 v30, v61, v48, -v1
	v_add_f32_e32 v1, v62, v58
	v_add_f32_e32 v2, v2, v20
	;; [unrolled: 1-line block ×16, first 2 shown]
	v_fmac_f32_e32 v9, v29, v36
	v_mul_f32_e32 v13, v32, v39
	v_add_f32_e32 v1, v1, v5
	v_add_f32_e32 v2, v2, v18
	v_fmac_f32_e32 v13, v31, v38
	v_mul_f32_e32 v17, v55, v41
	v_add_f32_e32 v1, v1, v9
	v_add_f32_e32 v2, v2, v22
	;; [unrolled: 4-line block ×4, first 2 shown]
	v_fmac_f32_e32 v25, v50, v44
	v_mul_f32_e32 v27, v53, v47
	v_mul_f32_e32 v29, v61, v49
	v_add_f32_e32 v1, v1, v21
	v_add_f32_e32 v2, v2, v30
	;; [unrolled: 1-line block ×3, first 2 shown]
	v_sub_f32_e32 v30, v63, v30
	v_fmac_f32_e32 v27, v52, v46
	v_fmac_f32_e32 v29, v60, v48
	v_add_f32_e32 v1, v1, v25
	v_mul_f32_e32 v34, 0xbeb8f4ab, v30
	v_mul_f32_e32 v36, 0xbf2c7751, v30
	;; [unrolled: 1-line block ×8, first 2 shown]
	v_add_f32_e32 v1, v1, v27
	v_add_f32_e32 v31, v62, v29
	v_mov_b32_e32 v35, v34
	v_mov_b32_e32 v37, v36
	;; [unrolled: 1-line block ×8, first 2 shown]
	v_add_f32_e32 v1, v1, v29
	v_sub_f32_e32 v29, v62, v29
	v_fmac_f32_e32 v35, 0x3f6eb680, v31
	v_fma_f32 v34, v31, s11, -v34
	v_fmac_f32_e32 v37, 0x3f3d2fb0, v31
	v_fma_f32 v36, v31, s10, -v36
	;; [unrolled: 2-line block ×8, first 2 shown]
	v_mul_f32_e32 v31, 0x3f6eb680, v32
	v_mul_f32_e32 v50, 0x3f3d2fb0, v32
	;; [unrolled: 1-line block ×8, first 2 shown]
	v_mov_b32_e32 v49, v31
	v_mov_b32_e32 v51, v50
	;; [unrolled: 1-line block ×8, first 2 shown]
	v_fmac_f32_e32 v49, 0x3eb8f4ab, v29
	v_fmac_f32_e32 v31, 0xbeb8f4ab, v29
	;; [unrolled: 1-line block ×16, first 2 shown]
	v_add_f32_e32 v29, v35, v58
	v_add_f32_e32 v35, v49, v59
	;; [unrolled: 1-line block ×18, first 2 shown]
	v_sub_f32_e32 v28, v65, v28
	v_add_f32_e32 v34, v34, v58
	v_add_f32_e32 v37, v37, v58
	;; [unrolled: 1-line block ×16, first 2 shown]
	v_sub_f32_e32 v27, v64, v27
	v_mul_f32_e32 v64, 0xbf2c7751, v28
	v_mov_b32_e32 v65, v64
	v_fmac_f32_e32 v65, 0x3f3d2fb0, v58
	v_add_f32_e32 v29, v65, v29
	v_mul_f32_e32 v65, 0x3f3d2fb0, v59
	v_fma_f32 v64, v58, s10, -v64
	v_mov_b32_e32 v66, v65
	v_add_f32_e32 v34, v64, v34
	v_fmac_f32_e32 v65, 0xbf2c7751, v27
	v_mul_f32_e32 v64, 0xbf7ee86f, v28
	v_add_f32_e32 v31, v65, v31
	v_mov_b32_e32 v65, v64
	v_fmac_f32_e32 v65, 0x3dbcf732, v58
	v_fmac_f32_e32 v66, 0x3f2c7751, v27
	v_add_f32_e32 v37, v65, v37
	v_mul_f32_e32 v65, 0x3dbcf732, v59
	v_fma_f32 v64, v58, s12, -v64
	v_add_f32_e32 v35, v66, v35
	v_mov_b32_e32 v66, v65
	v_add_f32_e32 v36, v64, v36
	v_fmac_f32_e32 v65, 0xbf7ee86f, v27
	v_mul_f32_e32 v64, 0xbf4c4adb, v28
	v_add_f32_e32 v50, v65, v50
	v_mov_b32_e32 v65, v64
	v_fmac_f32_e32 v65, 0xbf1a4643, v58
	v_fmac_f32_e32 v66, 0x3f7ee86f, v27
	v_add_f32_e32 v39, v65, v39
	v_mul_f32_e32 v65, 0xbf1a4643, v59
	v_fma_f32 v64, v58, s14, -v64
	v_add_f32_e32 v49, v66, v49
	;; [unrolled: 12-line block ×5, first 2 shown]
	v_mov_b32_e32 v66, v65
	v_add_f32_e32 v44, v64, v44
	v_fmac_f32_e32 v65, 0x3f763a35, v27
	v_mul_f32_e32 v64, 0x3f65296c, v28
	v_add_f32_e32 v60, v65, v60
	v_mov_b32_e32 v65, v64
	v_fma_f32 v64, v58, s7, -v64
	v_mul_f32_e32 v28, 0x3eb8f4ab, v28
	v_fmac_f32_e32 v65, 0x3ee437d1, v58
	v_add_f32_e32 v46, v64, v46
	v_mov_b32_e32 v64, v28
	v_fma_f32 v28, v58, s11, -v28
	v_fmac_f32_e32 v66, 0xbf763a35, v27
	v_add_f32_e32 v47, v65, v47
	v_mul_f32_e32 v65, 0x3ee437d1, v59
	v_fmac_f32_e32 v64, 0x3f6eb680, v58
	v_mul_f32_e32 v59, 0x3f6eb680, v59
	v_add_f32_e32 v28, v28, v30
	v_add_f32_e32 v30, v23, v25
	v_sub_f32_e32 v23, v23, v25
	v_add_f32_e32 v25, v24, v26
	v_sub_f32_e32 v24, v24, v26
	v_add_f32_e32 v57, v66, v57
	v_mov_b32_e32 v66, v65
	v_add_f32_e32 v48, v64, v48
	v_mov_b32_e32 v64, v59
	v_fmac_f32_e32 v59, 0x3eb8f4ab, v27
	v_mul_f32_e32 v26, 0xbf65296c, v24
	v_fmac_f32_e32 v66, 0xbf65296c, v27
	v_fmac_f32_e32 v65, 0x3f65296c, v27
	;; [unrolled: 1-line block ×3, first 2 shown]
	v_add_f32_e32 v27, v59, v32
	v_mov_b32_e32 v32, v26
	v_fmac_f32_e32 v32, 0x3ee437d1, v30
	v_add_f32_e32 v29, v32, v29
	v_mul_f32_e32 v32, 0x3ee437d1, v25
	v_mov_b32_e32 v58, v32
	v_fmac_f32_e32 v32, 0xbf65296c, v23
	v_fma_f32 v26, v30, s7, -v26
	v_add_f32_e32 v31, v32, v31
	v_mul_f32_e32 v32, 0xbf4c4adb, v24
	v_add_f32_e32 v26, v26, v34
	v_mov_b32_e32 v34, v32
	v_fmac_f32_e32 v34, 0xbf1a4643, v30
	v_fmac_f32_e32 v58, 0x3f65296c, v23
	v_add_f32_e32 v34, v34, v37
	v_mul_f32_e32 v37, 0xbf1a4643, v25
	v_add_f32_e32 v35, v58, v35
	v_mov_b32_e32 v58, v37
	v_fma_f32 v32, v30, s14, -v32
	v_fmac_f32_e32 v37, 0xbf4c4adb, v23
	v_add_f32_e32 v32, v32, v36
	v_add_f32_e32 v36, v37, v50
	v_mul_f32_e32 v37, 0x3e3c28d5, v24
	v_mov_b32_e32 v50, v37
	v_fmac_f32_e32 v50, 0xbf7ba420, v30
	v_fmac_f32_e32 v58, 0x3f4c4adb, v23
	v_add_f32_e32 v39, v50, v39
	v_mul_f32_e32 v50, 0xbf7ba420, v25
	v_add_f32_e32 v49, v58, v49
	v_mov_b32_e32 v58, v50
	v_fma_f32 v37, v30, s20, -v37
	v_fmac_f32_e32 v50, 0x3e3c28d5, v23
	v_add_f32_e32 v37, v37, v38
	v_add_f32_e32 v38, v50, v52
	v_mul_f32_e32 v50, 0x3f763a35, v24
	v_mov_b32_e32 v52, v50
	v_fmac_f32_e32 v52, 0xbe8c1d8e, v30
	v_fmac_f32_e32 v58, 0xbe3c28d5, v23
	v_add_f32_e32 v41, v52, v41
	v_mul_f32_e32 v52, 0xbe8c1d8e, v25
	v_add_f32_e32 v51, v58, v51
	v_mov_b32_e32 v58, v52
	v_fma_f32 v50, v30, s13, -v50
	v_fmac_f32_e32 v52, 0x3f763a35, v23
	v_add_f32_e32 v40, v50, v40
	v_add_f32_e32 v50, v52, v54
	v_mul_f32_e32 v52, 0x3f2c7751, v24
	v_mov_b32_e32 v54, v52
	v_fmac_f32_e32 v54, 0x3f3d2fb0, v30
	v_fmac_f32_e32 v58, 0xbf763a35, v23
	v_add_f32_e32 v43, v54, v43
	v_mul_f32_e32 v54, 0x3f3d2fb0, v25
	v_add_f32_e32 v53, v58, v53
	v_mov_b32_e32 v58, v54
	v_fma_f32 v52, v30, s10, -v52
	v_fmac_f32_e32 v54, 0x3f2c7751, v23
	v_add_f32_e32 v42, v52, v42
	v_add_f32_e32 v52, v54, v56
	v_mul_f32_e32 v54, 0xbeb8f4ab, v24
	v_mov_b32_e32 v56, v54
	v_fmac_f32_e32 v56, 0x3f6eb680, v30
	v_fmac_f32_e32 v58, 0xbf2c7751, v23
	v_add_f32_e32 v45, v56, v45
	v_mul_f32_e32 v56, 0x3f6eb680, v25
	v_add_f32_e32 v55, v58, v55
	v_mov_b32_e32 v58, v56
	v_fma_f32 v54, v30, s11, -v54
	v_fmac_f32_e32 v56, 0xbeb8f4ab, v23
	v_fmac_f32_e32 v58, 0x3eb8f4ab, v23
	v_add_f32_e32 v44, v54, v44
	v_add_f32_e32 v54, v56, v60
	v_mul_f32_e32 v56, 0xbf7ee86f, v24
	v_add_f32_e32 v57, v58, v57
	v_mov_b32_e32 v58, v56
	v_fmac_f32_e32 v58, 0x3dbcf732, v30
	v_add_f32_e32 v47, v58, v47
	v_mul_f32_e32 v58, 0x3dbcf732, v25
	v_add_f32_e32 v62, v65, v62
	v_mov_b32_e32 v59, v58
	v_fma_f32 v56, v30, s12, -v56
	v_fmac_f32_e32 v58, 0xbf7ee86f, v23
	v_mul_f32_e32 v24, 0xbf06c442, v24
	v_add_f32_e32 v46, v56, v46
	v_add_f32_e32 v56, v58, v62
	v_mov_b32_e32 v58, v24
	v_fmac_f32_e32 v58, 0xbf59a7d5, v30
	v_mul_f32_e32 v25, 0xbf59a7d5, v25
	v_add_f32_e32 v48, v58, v48
	v_mov_b32_e32 v58, v25
	v_fmac_f32_e32 v25, 0xbf06c442, v23
	v_fmac_f32_e32 v59, 0x3f7ee86f, v23
	;; [unrolled: 1-line block ×3, first 2 shown]
	v_add_f32_e32 v23, v25, v27
	v_add_f32_e32 v25, v19, v21
	v_sub_f32_e32 v19, v19, v21
	v_add_f32_e32 v21, v20, v22
	v_sub_f32_e32 v20, v20, v22
	v_mul_f32_e32 v22, 0xbf7ee86f, v20
	v_fma_f32 v24, v30, s15, -v24
	v_mov_b32_e32 v27, v22
	v_add_f32_e32 v24, v24, v28
	v_fmac_f32_e32 v27, 0x3dbcf732, v25
	v_mul_f32_e32 v28, 0x3dbcf732, v21
	v_add_f32_e32 v27, v27, v29
	v_mov_b32_e32 v29, v28
	v_fma_f32 v22, v25, s12, -v22
	v_fmac_f32_e32 v28, 0xbf7ee86f, v19
	v_add_f32_e32 v22, v22, v26
	v_add_f32_e32 v26, v28, v31
	v_mul_f32_e32 v28, 0xbe3c28d5, v20
	v_mov_b32_e32 v30, v28
	v_fma_f32 v28, v25, s20, -v28
	v_fmac_f32_e32 v29, 0x3f7ee86f, v19
	v_fmac_f32_e32 v30, 0xbf7ba420, v25
	v_mul_f32_e32 v31, 0xbf7ba420, v21
	v_add_f32_e32 v28, v28, v32
	v_mul_f32_e32 v32, 0x3f763a35, v20
	v_add_f32_e32 v29, v29, v35
	v_add_f32_e32 v30, v30, v34
	v_mov_b32_e32 v34, v31
	v_fmac_f32_e32 v31, 0xbe3c28d5, v19
	v_mov_b32_e32 v35, v32
	v_add_f32_e32 v31, v31, v36
	v_fmac_f32_e32 v35, 0xbe8c1d8e, v25
	v_mul_f32_e32 v36, 0xbe8c1d8e, v21
	v_fma_f32 v32, v25, s13, -v32
	v_add_f32_e32 v35, v35, v39
	v_mov_b32_e32 v39, v36
	v_add_f32_e32 v32, v32, v37
	v_fmac_f32_e32 v36, 0x3f763a35, v19
	v_mul_f32_e32 v37, 0x3eb8f4ab, v20
	v_add_f32_e32 v36, v36, v38
	v_mov_b32_e32 v38, v37
	v_fmac_f32_e32 v38, 0x3f6eb680, v25
	v_fmac_f32_e32 v34, 0x3e3c28d5, v19
	v_add_f32_e32 v38, v38, v41
	v_mul_f32_e32 v41, 0x3f6eb680, v21
	v_add_f32_e32 v34, v34, v49
	v_mov_b32_e32 v49, v41
	v_fma_f32 v37, v25, s11, -v37
	v_fmac_f32_e32 v41, 0x3eb8f4ab, v19
	v_add_f32_e32 v37, v37, v40
	v_add_f32_e32 v40, v41, v50
	v_mul_f32_e32 v41, 0xbf65296c, v20
	v_mov_b32_e32 v50, v41
	v_fmac_f32_e32 v50, 0x3ee437d1, v25
	v_fmac_f32_e32 v39, 0xbf763a35, v19
	v_add_f32_e32 v43, v50, v43
	v_mul_f32_e32 v50, 0x3ee437d1, v21
	v_add_f32_e32 v39, v39, v51
	v_mov_b32_e32 v51, v50
	v_fma_f32 v41, v25, s7, -v41
	v_fmac_f32_e32 v50, 0xbf65296c, v19
	v_add_f32_e32 v41, v41, v42
	v_add_f32_e32 v42, v50, v52
	v_mul_f32_e32 v50, 0xbf06c442, v20
	;; [unrolled: 12-line block ×3, first 2 shown]
	v_mov_b32_e32 v54, v52
	v_fmac_f32_e32 v54, 0xbf1a4643, v25
	v_fmac_f32_e32 v51, 0x3f65296c, v19
	v_add_f32_e32 v47, v54, v47
	v_mul_f32_e32 v54, 0xbf1a4643, v21
	v_add_f32_e32 v51, v51, v55
	v_mov_b32_e32 v55, v54
	v_fma_f32 v52, v25, s14, -v52
	v_fmac_f32_e32 v54, 0x3f4c4adb, v19
	v_mul_f32_e32 v20, 0x3f2c7751, v20
	v_add_f32_e32 v46, v52, v46
	v_add_f32_e32 v52, v54, v56
	v_mov_b32_e32 v54, v20
	v_fmac_f32_e32 v54, 0x3f3d2fb0, v25
	v_mul_f32_e32 v21, 0x3f3d2fb0, v21
	v_add_f32_e32 v48, v54, v48
	v_mov_b32_e32 v54, v21
	v_fmac_f32_e32 v21, 0x3f2c7751, v19
	v_fmac_f32_e32 v53, 0x3f06c442, v19
	;; [unrolled: 1-line block ×4, first 2 shown]
	v_fma_f32 v20, v25, s10, -v20
	v_add_f32_e32 v19, v21, v23
	v_add_f32_e32 v21, v15, v17
	v_sub_f32_e32 v15, v15, v17
	v_add_f32_e32 v17, v16, v18
	v_sub_f32_e32 v16, v16, v18
	v_add_f32_e32 v20, v20, v24
	v_mul_f32_e32 v18, 0xbf763a35, v16
	v_mul_f32_e32 v24, 0xbe8c1d8e, v17
	v_mov_b32_e32 v23, v18
	v_mov_b32_e32 v25, v24
	v_fma_f32 v18, v21, s13, -v18
	v_fmac_f32_e32 v24, 0xbf763a35, v15
	v_add_f32_e32 v18, v18, v22
	v_add_f32_e32 v22, v24, v26
	v_mul_f32_e32 v24, 0x3f06c442, v16
	v_fmac_f32_e32 v23, 0xbe8c1d8e, v21
	v_mov_b32_e32 v26, v24
	v_fma_f32 v24, v21, s15, -v24
	v_add_f32_e32 v23, v23, v27
	v_fmac_f32_e32 v25, 0x3f763a35, v15
	v_fmac_f32_e32 v26, 0xbf59a7d5, v21
	v_mul_f32_e32 v27, 0xbf59a7d5, v17
	v_add_f32_e32 v24, v24, v28
	v_mul_f32_e32 v28, 0x3f2c7751, v16
	v_add_f32_e32 v25, v25, v29
	v_add_f32_e32 v26, v26, v30
	v_mov_b32_e32 v29, v27
	v_fmac_f32_e32 v27, 0x3f06c442, v15
	v_mov_b32_e32 v30, v28
	v_fma_f32 v28, v21, s10, -v28
	v_fmac_f32_e32 v29, 0xbf06c442, v15
	v_add_f32_e32 v27, v27, v31
	v_fmac_f32_e32 v30, 0x3f3d2fb0, v21
	v_mul_f32_e32 v31, 0x3f3d2fb0, v17
	v_add_f32_e32 v28, v28, v32
	v_mul_f32_e32 v32, 0xbf65296c, v16
	v_add_f32_e32 v29, v29, v34
	v_add_f32_e32 v30, v30, v35
	v_mov_b32_e32 v34, v31
	v_fmac_f32_e32 v31, 0x3f2c7751, v15
	v_mov_b32_e32 v35, v32
	v_fma_f32 v32, v21, s7, -v32
	v_fmac_f32_e32 v34, 0xbf2c7751, v15
	v_add_f32_e32 v31, v31, v36
	v_fmac_f32_e32 v35, 0x3ee437d1, v21
	v_mul_f32_e32 v36, 0x3ee437d1, v17
	v_add_f32_e32 v32, v32, v37
	v_mul_f32_e32 v37, 0xbe3c28d5, v16
	v_add_f32_e32 v34, v34, v39
	v_add_f32_e32 v35, v35, v38
	v_mov_b32_e32 v38, v36
	v_fmac_f32_e32 v36, 0xbf65296c, v15
	v_mov_b32_e32 v39, v37
	v_add_f32_e32 v36, v36, v40
	v_fmac_f32_e32 v39, 0xbf7ba420, v21
	v_mul_f32_e32 v40, 0xbf7ba420, v17
	v_fma_f32 v37, v21, s20, -v37
	v_add_f32_e32 v39, v39, v43
	v_mov_b32_e32 v43, v40
	v_add_f32_e32 v37, v37, v41
	v_fmac_f32_e32 v40, 0xbe3c28d5, v15
	v_mul_f32_e32 v41, 0x3f7ee86f, v16
	v_add_f32_e32 v40, v40, v42
	v_mov_b32_e32 v42, v41
	v_fmac_f32_e32 v42, 0x3dbcf732, v21
	v_fmac_f32_e32 v38, 0x3f65296c, v15
	v_add_f32_e32 v42, v42, v45
	v_mul_f32_e32 v45, 0x3dbcf732, v17
	v_add_f32_e32 v38, v38, v49
	v_mov_b32_e32 v49, v45
	v_fma_f32 v41, v21, s12, -v41
	v_fmac_f32_e32 v45, 0x3f7ee86f, v15
	v_add_f32_e32 v41, v41, v44
	v_add_f32_e32 v44, v45, v50
	v_mul_f32_e32 v45, 0xbeb8f4ab, v16
	v_mov_b32_e32 v50, v45
	v_fmac_f32_e32 v50, 0x3f6eb680, v21
	v_fmac_f32_e32 v43, 0x3e3c28d5, v15
	v_add_f32_e32 v47, v50, v47
	v_mul_f32_e32 v50, 0x3f6eb680, v17
	v_add_f32_e32 v43, v43, v51
	v_mov_b32_e32 v51, v50
	v_fma_f32 v45, v21, s11, -v45
	v_fmac_f32_e32 v50, 0xbeb8f4ab, v15
	v_mul_f32_e32 v16, 0xbf4c4adb, v16
	v_add_f32_e32 v45, v45, v46
	v_add_f32_e32 v46, v50, v52
	v_mov_b32_e32 v50, v16
	v_fmac_f32_e32 v50, 0xbf1a4643, v21
	v_mul_f32_e32 v17, 0xbf1a4643, v17
	v_add_f32_e32 v48, v50, v48
	v_mov_b32_e32 v50, v17
	v_fmac_f32_e32 v17, 0xbf4c4adb, v15
	v_fmac_f32_e32 v49, 0xbf7ee86f, v15
	;; [unrolled: 1-line block ×4, first 2 shown]
	v_fma_f32 v16, v21, s14, -v16
	v_add_f32_e32 v15, v17, v19
	v_add_f32_e32 v19, v12, v14
	v_sub_f32_e32 v12, v12, v14
	v_add_f32_e32 v16, v16, v20
	v_add_f32_e32 v17, v11, v13
	v_sub_f32_e32 v11, v11, v13
	v_mul_f32_e32 v13, 0xbf4c4adb, v12
	v_mul_f32_e32 v20, 0xbf1a4643, v19
	v_mov_b32_e32 v14, v13
	v_mov_b32_e32 v21, v20
	v_fma_f32 v13, v17, s14, -v13
	v_fmac_f32_e32 v20, 0xbf4c4adb, v11
	v_add_f32_e32 v13, v13, v18
	v_add_f32_e32 v18, v20, v22
	v_mul_f32_e32 v20, 0x3f763a35, v12
	v_fmac_f32_e32 v14, 0xbf1a4643, v17
	v_mov_b32_e32 v22, v20
	v_fma_f32 v20, v17, s13, -v20
	v_add_f32_e32 v14, v14, v23
	v_fmac_f32_e32 v21, 0x3f4c4adb, v11
	v_fmac_f32_e32 v22, 0xbe8c1d8e, v17
	v_mul_f32_e32 v23, 0xbe8c1d8e, v19
	v_add_f32_e32 v20, v20, v24
	v_mul_f32_e32 v24, 0xbeb8f4ab, v12
	v_add_f32_e32 v21, v21, v25
	v_add_f32_e32 v22, v22, v26
	v_mov_b32_e32 v25, v23
	v_fmac_f32_e32 v23, 0x3f763a35, v11
	v_mov_b32_e32 v26, v24
	v_fma_f32 v24, v17, s11, -v24
	v_fmac_f32_e32 v25, 0xbf763a35, v11
	v_add_f32_e32 v23, v23, v27
	v_fmac_f32_e32 v26, 0x3f6eb680, v17
	v_mul_f32_e32 v27, 0x3f6eb680, v19
	v_add_f32_e32 v24, v24, v28
	v_mul_f32_e32 v28, 0xbf06c442, v12
	v_add_f32_e32 v25, v25, v29
	v_add_f32_e32 v26, v26, v30
	v_mov_b32_e32 v29, v27
	v_fmac_f32_e32 v27, 0xbeb8f4ab, v11
	v_mov_b32_e32 v30, v28
	v_fma_f32 v28, v17, s15, -v28
	v_fmac_f32_e32 v29, 0x3eb8f4ab, v11
	v_add_f32_e32 v27, v27, v31
	v_fmac_f32_e32 v30, 0xbf59a7d5, v17
	v_mul_f32_e32 v31, 0xbf59a7d5, v19
	v_add_f32_e32 v28, v28, v32
	v_mul_f32_e32 v32, 0x3f7ee86f, v12
	v_add_f32_e32 v29, v29, v34
	v_add_f32_e32 v30, v30, v35
	v_mov_b32_e32 v34, v31
	v_fmac_f32_e32 v31, 0xbf06c442, v11
	v_mov_b32_e32 v35, v32
	v_fma_f32 v32, v17, s12, -v32
	v_fmac_f32_e32 v34, 0x3f06c442, v11
	v_add_f32_e32 v31, v31, v36
	v_fmac_f32_e32 v35, 0x3dbcf732, v17
	v_mul_f32_e32 v36, 0x3dbcf732, v19
	v_add_f32_e32 v32, v32, v37
	v_mul_f32_e32 v37, 0xbf2c7751, v12
	v_add_f32_e32 v34, v34, v38
	v_add_f32_e32 v35, v35, v39
	v_mov_b32_e32 v38, v36
	v_fmac_f32_e32 v36, 0x3f7ee86f, v11
	v_mov_b32_e32 v39, v37
	v_fma_f32 v37, v17, s10, -v37
	v_fmac_f32_e32 v38, 0xbf7ee86f, v11
	v_add_f32_e32 v36, v36, v40
	v_fmac_f32_e32 v39, 0x3f3d2fb0, v17
	v_mul_f32_e32 v40, 0x3f3d2fb0, v19
	v_add_f32_e32 v37, v37, v41
	v_mul_f32_e32 v41, 0xbe3c28d5, v12
	v_add_f32_e32 v38, v38, v43
	v_add_f32_e32 v39, v39, v42
	v_mov_b32_e32 v42, v40
	v_fmac_f32_e32 v40, 0xbf2c7751, v11
	v_mov_b32_e32 v43, v41
	v_add_f32_e32 v40, v40, v44
	v_fmac_f32_e32 v43, 0xbf7ba420, v17
	v_mul_f32_e32 v44, 0xbf7ba420, v19
	v_fma_f32 v41, v17, s20, -v41
	v_mul_f32_e32 v12, 0x3f65296c, v12
	v_add_f32_e32 v43, v43, v47
	v_mov_b32_e32 v47, v44
	v_add_f32_e32 v41, v41, v45
	v_fmac_f32_e32 v44, 0xbe3c28d5, v11
	v_mov_b32_e32 v45, v12
	v_mul_f32_e32 v19, 0x3ee437d1, v19
	v_fma_f32 v12, v17, s7, -v12
	v_add_f32_e32 v44, v44, v46
	v_mov_b32_e32 v46, v19
	v_add_f32_e32 v12, v12, v16
	v_fmac_f32_e32 v19, 0x3f65296c, v11
	v_add_f32_e32 v16, v8, v10
	v_sub_f32_e32 v8, v8, v10
	v_fmac_f32_e32 v42, 0x3f2c7751, v11
	v_fmac_f32_e32 v47, 0x3e3c28d5, v11
	;; [unrolled: 1-line block ×3, first 2 shown]
	v_add_f32_e32 v11, v19, v15
	v_add_f32_e32 v15, v7, v9
	v_sub_f32_e32 v7, v7, v9
	v_mul_f32_e32 v9, 0xbf06c442, v8
	v_mov_b32_e32 v10, v9
	v_fmac_f32_e32 v10, 0xbf59a7d5, v15
	v_add_f32_e32 v10, v10, v14
	v_mul_f32_e32 v14, 0xbf59a7d5, v16
	v_fmac_f32_e32 v45, 0x3ee437d1, v17
	v_mov_b32_e32 v17, v14
	v_fma_f32 v9, v15, s15, -v9
	v_fmac_f32_e32 v14, 0xbf06c442, v7
	v_fmac_f32_e32 v17, 0x3f06c442, v7
	v_add_f32_e32 v9, v9, v13
	v_add_f32_e32 v13, v14, v18
	v_mul_f32_e32 v14, 0x3f65296c, v8
	v_mul_f32_e32 v19, 0x3ee437d1, v16
	v_add_f32_e32 v17, v17, v21
	v_mov_b32_e32 v18, v14
	v_mov_b32_e32 v21, v19
	v_fma_f32 v14, v15, s7, -v14
	v_fmac_f32_e32 v19, 0x3f65296c, v7
	v_fmac_f32_e32 v18, 0x3ee437d1, v15
	v_fmac_f32_e32 v21, 0xbf65296c, v7
	v_add_f32_e32 v14, v14, v20
	v_add_f32_e32 v19, v19, v23
	v_mul_f32_e32 v20, 0xbf7ee86f, v8
	v_mul_f32_e32 v23, 0x3dbcf732, v16
	v_add_f32_e32 v18, v18, v22
	v_add_f32_e32 v21, v21, v25
	v_mov_b32_e32 v22, v20
	v_mov_b32_e32 v25, v23
	v_fma_f32 v20, v15, s12, -v20
	v_fmac_f32_e32 v23, 0xbf7ee86f, v7
	v_fmac_f32_e32 v22, 0x3dbcf732, v15
	v_fmac_f32_e32 v25, 0x3f7ee86f, v7
	v_add_f32_e32 v20, v20, v24
	v_add_f32_e32 v23, v23, v27
	v_mul_f32_e32 v24, 0x3f4c4adb, v8
	v_mul_f32_e32 v27, 0xbf1a4643, v16
	v_add_f32_e32 v22, v22, v26
	;; [unrolled: 12-line block ×3, first 2 shown]
	v_add_f32_e32 v29, v29, v34
	v_mov_b32_e32 v30, v28
	v_mov_b32_e32 v34, v31
	v_fma_f32 v28, v15, s11, -v28
	v_fmac_f32_e32 v34, 0x3eb8f4ab, v7
	v_add_f32_e32 v28, v28, v32
	v_mul_f32_e32 v32, 0xbe3c28d5, v8
	v_add_f32_e32 v38, v34, v38
	v_mov_b32_e32 v34, v32
	v_fmac_f32_e32 v31, 0xbeb8f4ab, v7
	v_fmac_f32_e32 v34, 0xbf7ba420, v15
	v_add_f32_e32 v53, v53, v57
	v_fmac_f32_e32 v30, 0x3f6eb680, v15
	v_add_f32_e32 v31, v31, v36
	v_add_f32_e32 v36, v34, v39
	v_mul_f32_e32 v34, 0xbf7ba420, v16
	v_add_f32_e32 v61, v66, v61
	v_add_f32_e32 v49, v49, v53
	;; [unrolled: 1-line block ×3, first 2 shown]
	v_mov_b32_e32 v35, v34
	v_fma_f32 v32, v15, s20, -v32
	v_fmac_f32_e32 v34, 0xbe3c28d5, v7
	v_add_f32_e32 v63, v64, v63
	v_add_f32_e32 v59, v59, v61
	;; [unrolled: 1-line block ×3, first 2 shown]
	v_fmac_f32_e32 v35, 0x3e3c28d5, v7
	v_add_f32_e32 v32, v32, v37
	v_add_f32_e32 v37, v34, v40
	v_mul_f32_e32 v34, 0x3f2c7751, v8
	v_add_f32_e32 v58, v58, v63
	v_add_f32_e32 v55, v55, v59
	;; [unrolled: 1-line block ×3, first 2 shown]
	v_mov_b32_e32 v35, v34
	v_add_f32_e32 v54, v54, v58
	v_add_f32_e32 v51, v51, v55
	v_fmac_f32_e32 v35, 0x3f3d2fb0, v15
	v_fma_f32 v34, v15, s10, -v34
	v_mul_f32_e32 v8, 0xbf763a35, v8
	v_add_f32_e32 v50, v50, v54
	v_add_f32_e32 v47, v47, v51
	;; [unrolled: 1-line block ×3, first 2 shown]
	v_mul_f32_e32 v35, 0x3f3d2fb0, v16
	v_add_f32_e32 v41, v34, v41
	v_mov_b32_e32 v34, v8
	v_sub_f32_e32 v51, v4, v6
	v_add_f32_e32 v45, v45, v48
	v_add_f32_e32 v46, v46, v50
	v_mov_b32_e32 v42, v35
	v_fmac_f32_e32 v35, 0x3f2c7751, v7
	v_fmac_f32_e32 v34, 0xbe8c1d8e, v15
	v_mul_f32_e32 v16, 0xbe8c1d8e, v16
	v_add_f32_e32 v48, v3, v5
	v_sub_f32_e32 v50, v3, v5
	v_mul_f32_e32 v3, 0xbe3c28d5, v51
	v_add_f32_e32 v43, v35, v44
	v_add_f32_e32 v44, v34, v45
	v_mov_b32_e32 v34, v16
	v_add_f32_e32 v49, v4, v6
	v_mov_b32_e32 v4, v3
	v_fmac_f32_e32 v34, 0x3f763a35, v7
	v_fmac_f32_e32 v4, 0xbf7ba420, v48
	v_add_f32_e32 v45, v34, v46
	v_add_f32_e32 v34, v4, v10
	v_mul_f32_e32 v4, 0xbf7ba420, v49
	v_mov_b32_e32 v5, v4
	v_fmac_f32_e32 v5, 0x3e3c28d5, v50
	v_add_f32_e32 v35, v5, v17
	v_mul_f32_e32 v5, 0x3eb8f4ab, v51
	v_mov_b32_e32 v6, v5
	v_fma_f32 v3, v48, s20, -v3
	v_fmac_f32_e32 v6, 0x3f6eb680, v48
	v_add_f32_e32 v3, v3, v9
	v_add_f32_e32 v9, v6, v18
	v_mul_f32_e32 v6, 0x3f6eb680, v49
	v_fmac_f32_e32 v42, 0xbf2c7751, v7
	v_fmac_f32_e32 v16, 0xbf763a35, v7
	v_mov_b32_e32 v7, v6
	v_fmac_f32_e32 v7, 0xbeb8f4ab, v50
	v_fma_f32 v8, v15, s13, -v8
	v_add_f32_e32 v10, v7, v21
	v_mul_f32_e32 v7, 0xbf06c442, v51
	v_add_f32_e32 v46, v8, v12
	v_mov_b32_e32 v8, v7
	v_fmac_f32_e32 v4, 0xbe3c28d5, v50
	v_fmac_f32_e32 v8, 0xbf59a7d5, v48
	v_add_f32_e32 v4, v4, v13
	v_add_f32_e32 v13, v8, v22
	v_mul_f32_e32 v8, 0xbf59a7d5, v49
	v_add_f32_e32 v42, v42, v47
	v_add_f32_e32 v47, v16, v11
	v_mov_b32_e32 v11, v8
	v_fma_f32 v5, v48, s11, -v5
	v_fmac_f32_e32 v11, 0x3f06c442, v50
	v_add_f32_e32 v5, v5, v14
	v_add_f32_e32 v14, v11, v25
	v_mul_f32_e32 v11, 0x3f2c7751, v51
	v_mov_b32_e32 v12, v11
	v_fmac_f32_e32 v12, 0x3f3d2fb0, v48
	v_add_f32_e32 v17, v12, v26
	v_mul_f32_e32 v12, 0x3f3d2fb0, v49
	v_mov_b32_e32 v15, v12
	v_fmac_f32_e32 v15, 0xbf2c7751, v50
	;; [unrolled: 4-line block ×3, first 2 shown]
	v_fmac_f32_e32 v16, 0xbf1a4643, v48
	v_mul_f32_e32 v21, 0x3f65296c, v51
	v_mul_f32_e32 v25, 0xbf763a35, v51
	v_add_f32_e32 v6, v6, v19
	v_fma_f32 v7, v48, s15, -v7
	v_add_f32_e32 v19, v16, v30
	v_mul_f32_e32 v16, 0xbf1a4643, v49
	v_mov_b32_e32 v22, v21
	v_mov_b32_e32 v26, v25
	v_add_f32_e32 v7, v7, v20
	v_fmac_f32_e32 v8, 0xbf06c442, v50
	v_fmac_f32_e32 v12, 0x3f2c7751, v50
	v_mov_b32_e32 v20, v16
	v_fmac_f32_e32 v16, 0xbf4c4adb, v50
	v_fmac_f32_e32 v22, 0x3ee437d1, v48
	v_fma_f32 v21, v48, s7, -v21
	v_fmac_f32_e32 v26, 0xbe8c1d8e, v48
	v_add_f32_e32 v8, v8, v23
	v_fma_f32 v11, v48, s10, -v11
	v_add_f32_e32 v12, v12, v27
	v_fma_f32 v15, v48, s14, -v15
	v_add_f32_e32 v16, v16, v31
	v_add_f32_e32 v23, v22, v36
	v_mul_f32_e32 v22, 0x3ee437d1, v49
	v_add_f32_e32 v21, v21, v32
	v_add_f32_e32 v27, v26, v40
	v_mul_f32_e32 v26, 0xbe8c1d8e, v49
	v_mul_f32_e32 v31, 0x3f7ee86f, v51
	;; [unrolled: 1-line block ×3, first 2 shown]
	v_add_f32_e32 v11, v11, v24
	v_add_f32_e32 v15, v15, v28
	v_mov_b32_e32 v24, v22
	v_mov_b32_e32 v28, v26
	v_mov_b32_e32 v29, v31
	v_mov_b32_e32 v30, v32
	v_fmac_f32_e32 v20, 0x3f4c4adb, v50
	v_fmac_f32_e32 v24, 0xbf65296c, v50
	;; [unrolled: 1-line block ×4, first 2 shown]
	v_fma_f32 v25, v48, s13, -v25
	v_fmac_f32_e32 v26, 0xbf763a35, v50
	v_fmac_f32_e32 v29, 0x3dbcf732, v48
	;; [unrolled: 1-line block ×3, first 2 shown]
	v_fma_f32 v31, v48, s12, -v31
	v_fmac_f32_e32 v32, 0x3f7ee86f, v50
	v_add_f32_e32 v20, v20, v38
	v_add_f32_e32 v24, v24, v39
	;; [unrolled: 1-line block ×10, first 2 shown]
	s_barrier
	ds_write2_b64 v33, v[1:2], v[34:35] offset1:17
	ds_write2_b64 v33, v[9:10], v[13:14] offset0:34 offset1:51
	ds_write2_b64 v33, v[17:18], v[19:20] offset0:68 offset1:85
	;; [unrolled: 1-line block ×7, first 2 shown]
	ds_write_b64 v33, v[3:4] offset:2176
	v_mul_hi_u32 v1, v0, s6
	s_waitcnt lgkmcnt(0)
	s_barrier
	v_mul_u32_u24_e32 v2, 7, v1
	v_sub_u32_e32 v0, v0, v2
	v_add_u32_e32 v2, s19, v0
	v_cmp_gt_u32_e32 vcc, s33, v2
	s_or_b64 s[4:5], s[4:5], vcc
	s_and_saveexec_b64 s[6:7], s[4:5]
	s_cbranch_execz .LBB0_17
; %bb.16:
	v_mad_u64_u32 v[4:5], s[4:5], s16, v0, 0
	s_mul_i32 s1, s1, s27
	v_mul_lo_u32 v6, v1, s18
	v_mov_b32_e32 v2, v5
	v_mad_u64_u32 v[2:3], s[4:5], s17, v0, v[2:3]
	s_mul_hi_u32 s4, s0, s27
	s_mul_i32 s0, s0, s27
	s_add_i32 s1, s4, s1
	s_lshl_b64 s[0:1], s[0:1], 3
	s_add_u32 s4, s22, s0
	v_mov_b32_e32 v5, v2
	s_addc_u32 s5, s23, s1
	s_lshl_b64 s[0:1], s[2:3], 3
	v_mul_i32_i24_e32 v0, 0x908, v0
	v_lshlrev_b32_e32 v1, 3, v1
	s_add_u32 s0, s4, s0
	v_lshlrev_b64 v[4:5], 3, v[4:5]
	v_add3_u32 v8, 0, v0, v1
	s_addc_u32 s1, s5, s1
	v_mov_b32_e32 v7, 0
	ds_read2_b64 v[0:3], v8 offset1:17
	v_mov_b32_e32 v9, s1
	v_add_co_u32_e32 v10, vcc, s0, v4
	v_addc_co_u32_e32 v9, vcc, v9, v5, vcc
	v_lshlrev_b64 v[4:5], 3, v[6:7]
	s_mul_i32 s0, s18, 17
	v_add_co_u32_e32 v4, vcc, v10, v4
	v_addc_co_u32_e32 v5, vcc, v9, v5, vcc
	v_add_u32_e32 v6, s0, v6
	s_waitcnt lgkmcnt(0)
	global_store_dwordx2 v[4:5], v[0:1], off
	v_lshlrev_b64 v[0:1], 3, v[6:7]
	v_add_u32_e32 v6, s0, v6
	v_add_co_u32_e32 v0, vcc, v10, v0
	v_addc_co_u32_e32 v1, vcc, v9, v1, vcc
	global_store_dwordx2 v[0:1], v[2:3], off
	ds_read2_b64 v[0:3], v8 offset0:34 offset1:51
	v_lshlrev_b64 v[4:5], 3, v[6:7]
	v_add_u32_e32 v6, s0, v6
	v_add_co_u32_e32 v4, vcc, v10, v4
	v_addc_co_u32_e32 v5, vcc, v9, v5, vcc
	s_waitcnt lgkmcnt(0)
	global_store_dwordx2 v[4:5], v[0:1], off
	v_lshlrev_b64 v[0:1], 3, v[6:7]
	v_add_u32_e32 v6, s0, v6
	v_add_co_u32_e32 v0, vcc, v10, v0
	v_addc_co_u32_e32 v1, vcc, v9, v1, vcc
	global_store_dwordx2 v[0:1], v[2:3], off
	ds_read2_b64 v[0:3], v8 offset0:68 offset1:85
	v_lshlrev_b64 v[4:5], 3, v[6:7]
	v_add_u32_e32 v6, s0, v6
	v_add_co_u32_e32 v4, vcc, v10, v4
	v_addc_co_u32_e32 v5, vcc, v9, v5, vcc
	;; [unrolled: 12-line block ×7, first 2 shown]
	s_waitcnt lgkmcnt(0)
	global_store_dwordx2 v[4:5], v[0:1], off
	v_lshlrev_b64 v[0:1], 3, v[6:7]
	v_add_u32_e32 v6, s0, v6
	v_add_co_u32_e32 v0, vcc, v10, v0
	v_addc_co_u32_e32 v1, vcc, v9, v1, vcc
	global_store_dwordx2 v[0:1], v[2:3], off
	ds_read_b64 v[0:1], v8 offset:2176
	v_lshlrev_b64 v[2:3], 3, v[6:7]
	v_add_co_u32_e32 v2, vcc, v10, v2
	v_addc_co_u32_e32 v3, vcc, v9, v3, vcc
	s_waitcnt lgkmcnt(0)
	global_store_dwordx2 v[2:3], v[0:1], off
.LBB0_17:
	s_endpgm
	.section	.rodata,"a",@progbits
	.p2align	6, 0x0
	.amdhsa_kernel fft_rtc_back_len289_factors_17_17_wgs_119_tpt_17_sp_op_CI_CI_sbrc_unaligned
		.amdhsa_group_segment_fixed_size 0
		.amdhsa_private_segment_fixed_size 0
		.amdhsa_kernarg_size 104
		.amdhsa_user_sgpr_count 6
		.amdhsa_user_sgpr_private_segment_buffer 1
		.amdhsa_user_sgpr_dispatch_ptr 0
		.amdhsa_user_sgpr_queue_ptr 0
		.amdhsa_user_sgpr_kernarg_segment_ptr 1
		.amdhsa_user_sgpr_dispatch_id 0
		.amdhsa_user_sgpr_flat_scratch_init 0
		.amdhsa_user_sgpr_private_segment_size 0
		.amdhsa_uses_dynamic_stack 0
		.amdhsa_system_sgpr_private_segment_wavefront_offset 0
		.amdhsa_system_sgpr_workgroup_id_x 1
		.amdhsa_system_sgpr_workgroup_id_y 0
		.amdhsa_system_sgpr_workgroup_id_z 0
		.amdhsa_system_sgpr_workgroup_info 0
		.amdhsa_system_vgpr_workitem_id 0
		.amdhsa_next_free_vgpr 70
		.amdhsa_next_free_sgpr 45
		.amdhsa_reserve_vcc 1
		.amdhsa_reserve_flat_scratch 0
		.amdhsa_float_round_mode_32 0
		.amdhsa_float_round_mode_16_64 0
		.amdhsa_float_denorm_mode_32 3
		.amdhsa_float_denorm_mode_16_64 3
		.amdhsa_dx10_clamp 1
		.amdhsa_ieee_mode 1
		.amdhsa_fp16_overflow 0
		.amdhsa_exception_fp_ieee_invalid_op 0
		.amdhsa_exception_fp_denorm_src 0
		.amdhsa_exception_fp_ieee_div_zero 0
		.amdhsa_exception_fp_ieee_overflow 0
		.amdhsa_exception_fp_ieee_underflow 0
		.amdhsa_exception_fp_ieee_inexact 0
		.amdhsa_exception_int_div_zero 0
	.end_amdhsa_kernel
	.text
.Lfunc_end0:
	.size	fft_rtc_back_len289_factors_17_17_wgs_119_tpt_17_sp_op_CI_CI_sbrc_unaligned, .Lfunc_end0-fft_rtc_back_len289_factors_17_17_wgs_119_tpt_17_sp_op_CI_CI_sbrc_unaligned
                                        ; -- End function
	.section	.AMDGPU.csdata,"",@progbits
; Kernel info:
; codeLenInByte = 14680
; NumSgprs: 49
; NumVgprs: 70
; ScratchSize: 0
; MemoryBound: 0
; FloatMode: 240
; IeeeMode: 1
; LDSByteSize: 0 bytes/workgroup (compile time only)
; SGPRBlocks: 6
; VGPRBlocks: 17
; NumSGPRsForWavesPerEU: 49
; NumVGPRsForWavesPerEU: 70
; Occupancy: 3
; WaveLimiterHint : 1
; COMPUTE_PGM_RSRC2:SCRATCH_EN: 0
; COMPUTE_PGM_RSRC2:USER_SGPR: 6
; COMPUTE_PGM_RSRC2:TRAP_HANDLER: 0
; COMPUTE_PGM_RSRC2:TGID_X_EN: 1
; COMPUTE_PGM_RSRC2:TGID_Y_EN: 0
; COMPUTE_PGM_RSRC2:TGID_Z_EN: 0
; COMPUTE_PGM_RSRC2:TIDIG_COMP_CNT: 0
	.type	__hip_cuid_301302fc1f39d952,@object ; @__hip_cuid_301302fc1f39d952
	.section	.bss,"aw",@nobits
	.globl	__hip_cuid_301302fc1f39d952
__hip_cuid_301302fc1f39d952:
	.byte	0                               ; 0x0
	.size	__hip_cuid_301302fc1f39d952, 1

	.ident	"AMD clang version 19.0.0git (https://github.com/RadeonOpenCompute/llvm-project roc-6.4.0 25133 c7fe45cf4b819c5991fe208aaa96edf142730f1d)"
	.section	".note.GNU-stack","",@progbits
	.addrsig
	.addrsig_sym __hip_cuid_301302fc1f39d952
	.amdgpu_metadata
---
amdhsa.kernels:
  - .args:
      - .actual_access:  read_only
        .address_space:  global
        .offset:         0
        .size:           8
        .value_kind:     global_buffer
      - .offset:         8
        .size:           8
        .value_kind:     by_value
      - .actual_access:  read_only
        .address_space:  global
        .offset:         16
        .size:           8
        .value_kind:     global_buffer
      - .actual_access:  read_only
        .address_space:  global
        .offset:         24
        .size:           8
        .value_kind:     global_buffer
      - .actual_access:  read_only
        .address_space:  global
        .offset:         32
        .size:           8
        .value_kind:     global_buffer
      - .offset:         40
        .size:           8
        .value_kind:     by_value
      - .actual_access:  read_only
        .address_space:  global
        .offset:         48
        .size:           8
        .value_kind:     global_buffer
      - .actual_access:  read_only
        .address_space:  global
        .offset:         56
        .size:           8
        .value_kind:     global_buffer
      - .offset:         64
        .size:           4
        .value_kind:     by_value
      - .actual_access:  read_only
        .address_space:  global
        .offset:         72
        .size:           8
        .value_kind:     global_buffer
      - .actual_access:  read_only
        .address_space:  global
        .offset:         80
        .size:           8
        .value_kind:     global_buffer
      - .actual_access:  read_only
        .address_space:  global
        .offset:         88
        .size:           8
        .value_kind:     global_buffer
      - .actual_access:  write_only
        .address_space:  global
        .offset:         96
        .size:           8
        .value_kind:     global_buffer
    .group_segment_fixed_size: 0
    .kernarg_segment_align: 8
    .kernarg_segment_size: 104
    .language:       OpenCL C
    .language_version:
      - 2
      - 0
    .max_flat_workgroup_size: 119
    .name:           fft_rtc_back_len289_factors_17_17_wgs_119_tpt_17_sp_op_CI_CI_sbrc_unaligned
    .private_segment_fixed_size: 0
    .sgpr_count:     49
    .sgpr_spill_count: 0
    .symbol:         fft_rtc_back_len289_factors_17_17_wgs_119_tpt_17_sp_op_CI_CI_sbrc_unaligned.kd
    .uniform_work_group_size: 1
    .uses_dynamic_stack: false
    .vgpr_count:     70
    .vgpr_spill_count: 0
    .wavefront_size: 64
amdhsa.target:   amdgcn-amd-amdhsa--gfx906
amdhsa.version:
  - 1
  - 2
...

	.end_amdgpu_metadata
